;; amdgpu-corpus repo=ROCm/rocFFT kind=compiled arch=gfx906 opt=O3
	.text
	.amdgcn_target "amdgcn-amd-amdhsa--gfx906"
	.amdhsa_code_object_version 6
	.protected	fft_rtc_back_len408_factors_17_3_8_wgs_51_tpt_17_halfLds_sp_op_CI_CI_unitstride_sbrr_R2C_dirReg ; -- Begin function fft_rtc_back_len408_factors_17_3_8_wgs_51_tpt_17_halfLds_sp_op_CI_CI_unitstride_sbrr_R2C_dirReg
	.globl	fft_rtc_back_len408_factors_17_3_8_wgs_51_tpt_17_halfLds_sp_op_CI_CI_unitstride_sbrr_R2C_dirReg
	.p2align	8
	.type	fft_rtc_back_len408_factors_17_3_8_wgs_51_tpt_17_halfLds_sp_op_CI_CI_unitstride_sbrr_R2C_dirReg,@function
fft_rtc_back_len408_factors_17_3_8_wgs_51_tpt_17_halfLds_sp_op_CI_CI_unitstride_sbrr_R2C_dirReg: ; @fft_rtc_back_len408_factors_17_3_8_wgs_51_tpt_17_halfLds_sp_op_CI_CI_unitstride_sbrr_R2C_dirReg
; %bb.0:
	s_load_dwordx4 s[8:11], s[4:5], 0x58
	s_load_dwordx4 s[12:15], s[4:5], 0x0
	;; [unrolled: 1-line block ×3, first 2 shown]
	v_mul_u32_u24_e32 v1, 0xf10, v0
	v_lshrrev_b32_e32 v1, 16, v1
	v_mad_u64_u32 v[3:4], s[0:1], s6, 3, v[1:2]
	v_mov_b32_e32 v5, 0
	v_mov_b32_e32 v1, 0
	;; [unrolled: 1-line block ×3, first 2 shown]
	s_waitcnt lgkmcnt(0)
	v_cmp_lt_u64_e64 s[0:1], s[14:15], 2
	v_mov_b32_e32 v2, 0
	v_mov_b32_e32 v65, v2
	;; [unrolled: 1-line block ×3, first 2 shown]
	s_and_b64 vcc, exec, s[0:1]
	v_mov_b32_e32 v64, v1
	v_mov_b32_e32 v70, v3
	s_cbranch_vccnz .LBB0_8
; %bb.1:
	s_load_dwordx2 s[0:1], s[4:5], 0x10
	s_add_u32 s2, s18, 8
	s_addc_u32 s3, s19, 0
	s_add_u32 s6, s16, 8
	v_mov_b32_e32 v1, 0
	s_addc_u32 s7, s17, 0
	v_mov_b32_e32 v2, 0
	s_waitcnt lgkmcnt(0)
	s_add_u32 s20, s0, 8
	v_mov_b32_e32 v65, v2
	v_mov_b32_e32 v8, v4
	s_addc_u32 s21, s1, 0
	s_mov_b64 s[22:23], 1
	v_mov_b32_e32 v64, v1
	v_mov_b32_e32 v7, v3
.LBB0_2:                                ; =>This Inner Loop Header: Depth=1
	s_load_dwordx2 s[24:25], s[20:21], 0x0
                                        ; implicit-def: $vgpr70_vgpr71
	s_waitcnt lgkmcnt(0)
	v_or_b32_e32 v6, s25, v8
	v_cmp_ne_u64_e32 vcc, 0, v[5:6]
	s_and_saveexec_b64 s[0:1], vcc
	s_xor_b64 s[26:27], exec, s[0:1]
	s_cbranch_execz .LBB0_4
; %bb.3:                                ;   in Loop: Header=BB0_2 Depth=1
	v_cvt_f32_u32_e32 v4, s24
	v_cvt_f32_u32_e32 v6, s25
	s_sub_u32 s0, 0, s24
	s_subb_u32 s1, 0, s25
	v_mac_f32_e32 v4, 0x4f800000, v6
	v_rcp_f32_e32 v4, v4
	v_mul_f32_e32 v4, 0x5f7ffffc, v4
	v_mul_f32_e32 v6, 0x2f800000, v4
	v_trunc_f32_e32 v6, v6
	v_mac_f32_e32 v4, 0xcf800000, v6
	v_cvt_u32_f32_e32 v6, v6
	v_cvt_u32_f32_e32 v4, v4
	v_mul_lo_u32 v9, s0, v6
	v_mul_hi_u32 v10, s0, v4
	v_mul_lo_u32 v12, s1, v4
	v_mul_lo_u32 v11, s0, v4
	v_add_u32_e32 v9, v10, v9
	v_add_u32_e32 v9, v9, v12
	v_mul_hi_u32 v10, v4, v11
	v_mul_lo_u32 v12, v4, v9
	v_mul_hi_u32 v14, v4, v9
	v_mul_hi_u32 v13, v6, v11
	v_mul_lo_u32 v11, v6, v11
	v_mul_hi_u32 v15, v6, v9
	v_add_co_u32_e32 v10, vcc, v10, v12
	v_addc_co_u32_e32 v12, vcc, 0, v14, vcc
	v_mul_lo_u32 v9, v6, v9
	v_add_co_u32_e32 v10, vcc, v10, v11
	v_addc_co_u32_e32 v10, vcc, v12, v13, vcc
	v_addc_co_u32_e32 v11, vcc, 0, v15, vcc
	v_add_co_u32_e32 v9, vcc, v10, v9
	v_addc_co_u32_e32 v10, vcc, 0, v11, vcc
	v_add_co_u32_e32 v4, vcc, v4, v9
	v_addc_co_u32_e32 v6, vcc, v6, v10, vcc
	v_mul_lo_u32 v9, s0, v6
	v_mul_hi_u32 v10, s0, v4
	v_mul_lo_u32 v11, s1, v4
	v_mul_lo_u32 v12, s0, v4
	v_add_u32_e32 v9, v10, v9
	v_add_u32_e32 v9, v9, v11
	v_mul_lo_u32 v13, v4, v9
	v_mul_hi_u32 v14, v4, v12
	v_mul_hi_u32 v15, v4, v9
	;; [unrolled: 1-line block ×3, first 2 shown]
	v_mul_lo_u32 v12, v6, v12
	v_mul_hi_u32 v10, v6, v9
	v_add_co_u32_e32 v13, vcc, v14, v13
	v_addc_co_u32_e32 v14, vcc, 0, v15, vcc
	v_mul_lo_u32 v9, v6, v9
	v_add_co_u32_e32 v12, vcc, v13, v12
	v_addc_co_u32_e32 v11, vcc, v14, v11, vcc
	v_addc_co_u32_e32 v10, vcc, 0, v10, vcc
	v_add_co_u32_e32 v9, vcc, v11, v9
	v_addc_co_u32_e32 v10, vcc, 0, v10, vcc
	v_add_co_u32_e32 v4, vcc, v4, v9
	v_addc_co_u32_e32 v6, vcc, v6, v10, vcc
	v_mad_u64_u32 v[9:10], s[0:1], v7, v6, 0
	v_mul_hi_u32 v11, v7, v4
	v_add_co_u32_e32 v13, vcc, v11, v9
	v_addc_co_u32_e32 v14, vcc, 0, v10, vcc
	v_mad_u64_u32 v[9:10], s[0:1], v8, v4, 0
	v_mad_u64_u32 v[11:12], s[0:1], v8, v6, 0
	v_add_co_u32_e32 v4, vcc, v13, v9
	v_addc_co_u32_e32 v4, vcc, v14, v10, vcc
	v_addc_co_u32_e32 v6, vcc, 0, v12, vcc
	v_add_co_u32_e32 v4, vcc, v4, v11
	v_addc_co_u32_e32 v6, vcc, 0, v6, vcc
	v_mul_lo_u32 v11, s25, v4
	v_mul_lo_u32 v12, s24, v6
	v_mad_u64_u32 v[9:10], s[0:1], s24, v4, 0
	v_add3_u32 v10, v10, v12, v11
	v_sub_u32_e32 v11, v8, v10
	v_mov_b32_e32 v12, s25
	v_sub_co_u32_e32 v9, vcc, v7, v9
	v_subb_co_u32_e64 v11, s[0:1], v11, v12, vcc
	v_subrev_co_u32_e64 v12, s[0:1], s24, v9
	v_subbrev_co_u32_e64 v11, s[0:1], 0, v11, s[0:1]
	v_cmp_le_u32_e64 s[0:1], s25, v11
	v_cndmask_b32_e64 v13, 0, -1, s[0:1]
	v_cmp_le_u32_e64 s[0:1], s24, v12
	v_cndmask_b32_e64 v12, 0, -1, s[0:1]
	v_cmp_eq_u32_e64 s[0:1], s25, v11
	v_cndmask_b32_e64 v11, v13, v12, s[0:1]
	v_add_co_u32_e64 v12, s[0:1], 2, v4
	v_addc_co_u32_e64 v13, s[0:1], 0, v6, s[0:1]
	v_add_co_u32_e64 v14, s[0:1], 1, v4
	v_addc_co_u32_e64 v15, s[0:1], 0, v6, s[0:1]
	v_subb_co_u32_e32 v10, vcc, v8, v10, vcc
	v_cmp_ne_u32_e64 s[0:1], 0, v11
	v_cmp_le_u32_e32 vcc, s25, v10
	v_cndmask_b32_e64 v11, v15, v13, s[0:1]
	v_cndmask_b32_e64 v13, 0, -1, vcc
	v_cmp_le_u32_e32 vcc, s24, v9
	v_cndmask_b32_e64 v9, 0, -1, vcc
	v_cmp_eq_u32_e32 vcc, s25, v10
	v_cndmask_b32_e32 v9, v13, v9, vcc
	v_cmp_ne_u32_e32 vcc, 0, v9
	v_cndmask_b32_e32 v71, v6, v11, vcc
	v_cndmask_b32_e64 v6, v14, v12, s[0:1]
	v_cndmask_b32_e32 v70, v4, v6, vcc
.LBB0_4:                                ;   in Loop: Header=BB0_2 Depth=1
	s_andn2_saveexec_b64 s[0:1], s[26:27]
	s_cbranch_execz .LBB0_6
; %bb.5:                                ;   in Loop: Header=BB0_2 Depth=1
	v_cvt_f32_u32_e32 v4, s24
	s_sub_i32 s26, 0, s24
	v_mov_b32_e32 v71, v5
	v_rcp_iflag_f32_e32 v4, v4
	v_mul_f32_e32 v4, 0x4f7ffffe, v4
	v_cvt_u32_f32_e32 v4, v4
	v_mul_lo_u32 v6, s26, v4
	v_mul_hi_u32 v6, v4, v6
	v_add_u32_e32 v4, v4, v6
	v_mul_hi_u32 v4, v7, v4
	v_mul_lo_u32 v6, v4, s24
	v_add_u32_e32 v9, 1, v4
	v_sub_u32_e32 v6, v7, v6
	v_subrev_u32_e32 v10, s24, v6
	v_cmp_le_u32_e32 vcc, s24, v6
	v_cndmask_b32_e32 v6, v6, v10, vcc
	v_cndmask_b32_e32 v4, v4, v9, vcc
	v_add_u32_e32 v9, 1, v4
	v_cmp_le_u32_e32 vcc, s24, v6
	v_cndmask_b32_e32 v70, v4, v9, vcc
.LBB0_6:                                ;   in Loop: Header=BB0_2 Depth=1
	s_or_b64 exec, exec, s[0:1]
	v_mul_lo_u32 v4, v71, s24
	v_mul_lo_u32 v6, v70, s25
	v_mad_u64_u32 v[9:10], s[0:1], v70, s24, 0
	s_load_dwordx2 s[0:1], s[6:7], 0x0
	s_load_dwordx2 s[24:25], s[2:3], 0x0
	v_add3_u32 v4, v10, v6, v4
	v_sub_co_u32_e32 v6, vcc, v7, v9
	v_subb_co_u32_e32 v4, vcc, v8, v4, vcc
	s_waitcnt lgkmcnt(0)
	v_mul_lo_u32 v7, s0, v4
	v_mul_lo_u32 v8, s1, v6
	v_mad_u64_u32 v[1:2], s[0:1], s0, v6, v[1:2]
	s_add_u32 s22, s22, 1
	s_addc_u32 s23, s23, 0
	s_add_u32 s2, s2, 8
	v_mul_lo_u32 v4, s24, v4
	v_mul_lo_u32 v9, s25, v6
	v_mad_u64_u32 v[64:65], s[0:1], s24, v6, v[64:65]
	v_add3_u32 v2, v8, v2, v7
	s_addc_u32 s3, s3, 0
	v_mov_b32_e32 v6, s14
	s_add_u32 s6, s6, 8
	v_mov_b32_e32 v7, s15
	s_addc_u32 s7, s7, 0
	v_cmp_ge_u64_e32 vcc, s[22:23], v[6:7]
	s_add_u32 s20, s20, 8
	v_add3_u32 v65, v9, v65, v4
	s_addc_u32 s21, s21, 0
	s_cbranch_vccnz .LBB0_8
; %bb.7:                                ;   in Loop: Header=BB0_2 Depth=1
	v_mov_b32_e32 v7, v70
	v_mov_b32_e32 v8, v71
	s_branch .LBB0_2
.LBB0_8:
	s_mov_b32 s2, 0xaaaaaaab
	s_load_dwordx2 s[0:1], s[4:5], 0x28
	v_mul_hi_u32 v4, v3, s2
	s_lshl_b64 s[6:7], s[14:15], 3
	s_add_u32 s2, s18, s6
	s_addc_u32 s3, s19, s7
	v_lshrrev_b32_e32 v4, 1, v4
	v_lshl_add_u32 v4, v4, 1, v4
	s_waitcnt lgkmcnt(0)
	v_cmp_gt_u64_e32 vcc, s[0:1], v[70:71]
	v_cmp_le_u64_e64 s[0:1], s[0:1], v[70:71]
	v_sub_u32_e32 v3, v3, v4
                                        ; implicit-def: $vgpr66
                                        ; implicit-def: $vgpr68
	s_and_saveexec_b64 s[4:5], s[0:1]
	s_xor_b64 s[0:1], exec, s[4:5]
; %bb.9:
	s_mov_b32 s4, 0xf0f0f10
	v_mul_hi_u32 v1, v0, s4
	v_mul_u32_u24_e32 v1, 17, v1
	v_sub_u32_e32 v66, v0, v1
	v_add_u32_e32 v68, 17, v66
                                        ; implicit-def: $vgpr0
                                        ; implicit-def: $vgpr1_vgpr2
; %bb.10:
	s_or_saveexec_b64 s[4:5], s[0:1]
	v_mul_u32_u24_e32 v3, 0x199, v3
	v_lshlrev_b32_e32 v79, 3, v3
	s_xor_b64 exec, exec, s[4:5]
	s_cbranch_execz .LBB0_12
; %bb.11:
	s_add_u32 s0, s16, s6
	s_addc_u32 s1, s17, s7
	s_load_dwordx2 s[0:1], s[0:1], 0x0
	s_mov_b32 s6, 0xf0f0f10
	v_mul_hi_u32 v5, v0, s6
	s_waitcnt lgkmcnt(0)
	v_mul_lo_u32 v6, s1, v70
	v_mul_lo_u32 v7, s0, v71
	v_mad_u64_u32 v[3:4], s[0:1], s0, v70, 0
	v_mul_u32_u24_e32 v5, 17, v5
	v_sub_u32_e32 v66, v0, v5
	v_add3_u32 v4, v4, v7, v6
	v_lshlrev_b64 v[3:4], 3, v[3:4]
	v_mov_b32_e32 v0, s9
	v_add_co_u32_e64 v3, s[0:1], s8, v3
	v_addc_co_u32_e64 v4, s[0:1], v0, v4, s[0:1]
	v_lshlrev_b64 v[0:1], 3, v[1:2]
	v_lshlrev_b32_e32 v50, 3, v66
	v_add_co_u32_e64 v0, s[0:1], v3, v0
	v_addc_co_u32_e64 v1, s[0:1], v4, v1, s[0:1]
	v_add_co_u32_e64 v0, s[0:1], v0, v50
	v_addc_co_u32_e64 v1, s[0:1], 0, v1, s[0:1]
	global_load_dwordx2 v[2:3], v[0:1], off
	global_load_dwordx2 v[4:5], v[0:1], off offset:136
	global_load_dwordx2 v[6:7], v[0:1], off offset:272
	;; [unrolled: 1-line block ×23, first 2 shown]
	v_add_u32_e32 v68, 17, v66
	v_add3_u32 v0, 0, v79, v50
	v_add_u32_e32 v1, 0x800, v0
	s_waitcnt vmcnt(22)
	ds_write2_b64 v0, v[2:3], v[4:5] offset1:17
	s_waitcnt vmcnt(20)
	ds_write2_b64 v0, v[6:7], v[8:9] offset0:34 offset1:51
	s_waitcnt vmcnt(18)
	ds_write2_b64 v0, v[10:11], v[12:13] offset0:68 offset1:85
	;; [unrolled: 2-line block ×11, first 2 shown]
.LBB0_12:
	s_or_b64 exec, exec, s[4:5]
	v_lshlrev_b32_e32 v67, 3, v66
	v_add_u32_e32 v0, 0, v67
	v_add_u32_e32 v69, v0, v79
	;; [unrolled: 1-line block ×4, first 2 shown]
	s_load_dwordx2 s[2:3], s[2:3], 0x0
	s_waitcnt lgkmcnt(0)
	; wave barrier
	s_waitcnt lgkmcnt(0)
	v_add_u32_e32 v77, v76, v67
	ds_read2_b64 v[0:3], v69 offset0:17 offset1:24
	ds_read2_b64 v[60:63], v69 offset0:41 offset1:48
	;; [unrolled: 1-line block ×13, first 2 shown]
	ds_read_b64 v[80:81], v77
	ds_read2_b64 v[12:15], v78 offset0:73 offset1:80
	ds_read2_b64 v[8:11], v78 offset0:97 offset1:104
	ds_read2_b64 v[4:7], v78 offset0:121 offset1:128
	ds_read_b64 v[72:73], v69 offset:3208
	s_waitcnt lgkmcnt(4)
	v_add_f32_e32 v74, v80, v2
	v_add_f32_e32 v75, v81, v3
	;; [unrolled: 1-line block ×26, first 2 shown]
	s_waitcnt lgkmcnt(3)
	v_add_f32_e32 v74, v74, v14
	s_waitcnt lgkmcnt(1)
	v_add_f32_e32 v83, v7, v3
	v_add_f32_e32 v75, v75, v15
	;; [unrolled: 1-line block ×3, first 2 shown]
	v_sub_f32_e32 v3, v3, v7
	v_mul_f32_e32 v84, 0x3f6eb680, v83
	v_mul_f32_e32 v88, 0x3f3d2fb0, v83
	;; [unrolled: 1-line block ×8, first 2 shown]
	v_add_f32_e32 v75, v75, v11
	v_add_f32_e32 v74, v74, v6
	;; [unrolled: 1-line block ×3, first 2 shown]
	v_sub_f32_e32 v2, v2, v6
	v_mul_f32_e32 v6, 0xbeb8f4ab, v3
	v_mov_b32_e32 v85, v84
	v_mul_f32_e32 v86, 0xbf2c7751, v3
	v_mov_b32_e32 v89, v88
	;; [unrolled: 2-line block ×8, first 2 shown]
	v_add_f32_e32 v75, v75, v7
	s_mov_b32 s6, 0x3f6eb680
	v_mov_b32_e32 v7, v6
	v_fmac_f32_e32 v85, 0x3eb8f4ab, v2
	v_fmac_f32_e32 v84, 0xbeb8f4ab, v2
	s_mov_b32 s7, 0x3f3d2fb0
	v_mov_b32_e32 v87, v86
	v_fmac_f32_e32 v89, 0x3f2c7751, v2
	v_fmac_f32_e32 v88, 0xbf2c7751, v2
	;; [unrolled: 4-line block ×8, first 2 shown]
	v_fmac_f32_e32 v7, 0x3f6eb680, v82
	v_add_f32_e32 v85, v81, v85
	v_fma_f32 v6, v82, s6, -v6
	v_add_f32_e32 v84, v81, v84
	v_fmac_f32_e32 v87, 0x3f3d2fb0, v82
	v_add_f32_e32 v89, v81, v89
	v_fma_f32 v86, v82, s7, -v86
	v_add_f32_e32 v88, v81, v88
	;; [unrolled: 4-line block ×8, first 2 shown]
	v_add_f32_e32 v81, v11, v63
	v_sub_f32_e32 v11, v63, v11
	v_add_f32_e32 v7, v80, v7
	v_add_f32_e32 v6, v80, v6
	;; [unrolled: 1-line block ×17, first 2 shown]
	v_sub_f32_e32 v10, v62, v10
	v_mul_f32_e32 v62, 0xbf2c7751, v11
	v_mov_b32_e32 v63, v62
	v_fmac_f32_e32 v63, 0x3f3d2fb0, v80
	v_add_f32_e32 v7, v63, v7
	v_mul_f32_e32 v63, 0x3f3d2fb0, v81
	v_mov_b32_e32 v82, v63
	v_fma_f32 v62, v80, s7, -v62
	v_fmac_f32_e32 v63, 0xbf2c7751, v10
	v_add_f32_e32 v6, v62, v6
	v_add_f32_e32 v62, v63, v84
	v_mul_f32_e32 v63, 0xbf7ee86f, v11
	v_mov_b32_e32 v83, v63
	v_fma_f32 v63, v80, s9, -v63
	v_fmac_f32_e32 v82, 0x3f2c7751, v10
	v_fmac_f32_e32 v83, 0x3dbcf732, v80
	v_mul_f32_e32 v84, 0x3dbcf732, v81
	v_add_f32_e32 v63, v63, v86
	v_mul_f32_e32 v86, 0xbf4c4adb, v11
	v_add_f32_e32 v82, v82, v85
	v_add_f32_e32 v83, v83, v87
	v_mov_b32_e32 v85, v84
	v_fmac_f32_e32 v84, 0xbf7ee86f, v10
	v_mov_b32_e32 v87, v86
	v_fma_f32 v86, v80, s15, -v86
	v_fmac_f32_e32 v85, 0x3f7ee86f, v10
	v_add_f32_e32 v84, v84, v88
	v_fmac_f32_e32 v87, 0xbf1a4643, v80
	v_mul_f32_e32 v88, 0xbf1a4643, v81
	v_add_f32_e32 v86, v86, v90
	v_mul_f32_e32 v90, 0xbe3c28d5, v11
	v_add_f32_e32 v85, v85, v89
	v_add_f32_e32 v87, v87, v91
	v_mov_b32_e32 v89, v88
	v_fmac_f32_e32 v88, 0xbf4c4adb, v10
	v_mov_b32_e32 v91, v90
	v_fma_f32 v90, v80, s17, -v90
	v_fmac_f32_e32 v89, 0x3f4c4adb, v10
	v_add_f32_e32 v88, v88, v92
	;; [unrolled: 12-line block ×4, first 2 shown]
	v_fmac_f32_e32 v99, 0xbe8c1d8e, v80
	v_mul_f32_e32 v100, 0xbe8c1d8e, v81
	v_add_f32_e32 v98, v98, v102
	v_mul_f32_e32 v102, 0x3f65296c, v11
	v_add_f32_e32 v97, v97, v101
	v_add_f32_e32 v99, v99, v103
	v_mov_b32_e32 v101, v100
	v_fmac_f32_e32 v100, 0x3f763a35, v10
	v_mov_b32_e32 v103, v102
	v_fma_f32 v102, v80, s8, -v102
	v_mul_f32_e32 v11, 0x3eb8f4ab, v11
	v_fmac_f32_e32 v101, 0xbf763a35, v10
	v_add_f32_e32 v100, v100, v104
	v_fmac_f32_e32 v103, 0x3ee437d1, v80
	v_mul_f32_e32 v104, 0x3ee437d1, v81
	v_add_f32_e32 v102, v102, v106
	v_mov_b32_e32 v106, v11
	v_mul_f32_e32 v81, 0x3f6eb680, v81
	v_fma_f32 v11, v80, s6, -v11
	v_add_f32_e32 v101, v101, v105
	v_add_f32_e32 v103, v103, v107
	v_mov_b32_e32 v105, v104
	v_mov_b32_e32 v107, v81
	v_add_f32_e32 v3, v11, v3
	v_add_f32_e32 v11, v15, v59
	v_sub_f32_e32 v15, v59, v15
	v_fmac_f32_e32 v105, 0xbf65296c, v10
	v_fmac_f32_e32 v104, 0x3f65296c, v10
	;; [unrolled: 1-line block ×4, first 2 shown]
	v_add_f32_e32 v10, v14, v58
	v_sub_f32_e32 v14, v58, v14
	v_mul_f32_e32 v58, 0xbf65296c, v15
	v_mov_b32_e32 v59, v58
	v_fmac_f32_e32 v59, 0x3ee437d1, v10
	v_add_f32_e32 v7, v59, v7
	v_mul_f32_e32 v59, 0x3ee437d1, v11
	v_fmac_f32_e32 v106, 0x3f6eb680, v80
	v_mov_b32_e32 v80, v59
	v_fma_f32 v58, v10, s8, -v58
	v_fmac_f32_e32 v59, 0xbf65296c, v14
	v_add_f32_e32 v2, v81, v2
	v_fmac_f32_e32 v80, 0x3f65296c, v14
	v_add_f32_e32 v6, v58, v6
	v_add_f32_e32 v58, v59, v62
	v_mul_f32_e32 v59, 0xbf4c4adb, v15
	v_mul_f32_e32 v81, 0xbf1a4643, v11
	v_add_f32_e32 v80, v80, v82
	v_mov_b32_e32 v62, v59
	v_mov_b32_e32 v82, v81
	v_fma_f32 v59, v10, s15, -v59
	v_fmac_f32_e32 v81, 0xbf4c4adb, v14
	v_fmac_f32_e32 v62, 0xbf1a4643, v10
	v_add_f32_e32 v59, v59, v63
	v_add_f32_e32 v63, v81, v84
	v_mul_f32_e32 v81, 0x3e3c28d5, v15
	v_add_f32_e32 v62, v62, v83
	v_mov_b32_e32 v83, v81
	v_fma_f32 v81, v10, s17, -v81
	v_fmac_f32_e32 v82, 0x3f4c4adb, v14
	v_fmac_f32_e32 v83, 0xbf7ba420, v10
	v_mul_f32_e32 v84, 0xbf7ba420, v11
	v_add_f32_e32 v81, v81, v86
	v_mul_f32_e32 v86, 0x3f763a35, v15
	v_add_f32_e32 v82, v82, v85
	v_add_f32_e32 v83, v83, v87
	v_mov_b32_e32 v85, v84
	v_fmac_f32_e32 v84, 0x3e3c28d5, v14
	v_mov_b32_e32 v87, v86
	v_fma_f32 v86, v10, s14, -v86
	v_fmac_f32_e32 v85, 0xbe3c28d5, v14
	v_add_f32_e32 v84, v84, v88
	v_fmac_f32_e32 v87, 0xbe8c1d8e, v10
	v_mul_f32_e32 v88, 0xbe8c1d8e, v11
	v_add_f32_e32 v86, v86, v90
	v_mul_f32_e32 v90, 0x3f2c7751, v15
	v_add_f32_e32 v85, v85, v89
	v_add_f32_e32 v87, v87, v91
	v_mov_b32_e32 v89, v88
	v_fmac_f32_e32 v88, 0x3f763a35, v14
	v_mov_b32_e32 v91, v90
	v_fma_f32 v90, v10, s7, -v90
	v_fmac_f32_e32 v89, 0xbf763a35, v14
	v_add_f32_e32 v88, v88, v92
	;; [unrolled: 12-line block ×3, first 2 shown]
	v_fmac_f32_e32 v95, 0x3f6eb680, v10
	v_mul_f32_e32 v96, 0x3f6eb680, v11
	v_add_f32_e32 v94, v94, v98
	v_mul_f32_e32 v98, 0xbf7ee86f, v15
	v_add_f32_e32 v93, v93, v97
	v_add_f32_e32 v95, v95, v99
	v_mov_b32_e32 v97, v96
	v_fmac_f32_e32 v96, 0xbeb8f4ab, v14
	v_mov_b32_e32 v99, v98
	v_fma_f32 v98, v10, s9, -v98
	v_mul_f32_e32 v15, 0xbf06c442, v15
	v_fmac_f32_e32 v97, 0x3eb8f4ab, v14
	v_add_f32_e32 v96, v96, v100
	v_fmac_f32_e32 v99, 0x3dbcf732, v10
	v_mul_f32_e32 v100, 0x3dbcf732, v11
	v_add_f32_e32 v98, v98, v102
	v_mov_b32_e32 v102, v15
	v_mul_f32_e32 v11, 0xbf59a7d5, v11
	v_add_f32_e32 v97, v97, v101
	v_add_f32_e32 v99, v99, v103
	v_mov_b32_e32 v101, v100
	v_fmac_f32_e32 v102, 0xbf59a7d5, v10
	v_mov_b32_e32 v103, v11
	v_fma_f32 v10, v10, s16, -v15
	v_sub_f32_e32 v15, v55, v19
	v_fmac_f32_e32 v101, 0x3f7ee86f, v14
	v_fmac_f32_e32 v100, 0xbf7ee86f, v14
	v_fmac_f32_e32 v103, 0x3f06c442, v14
	v_add_f32_e32 v3, v10, v3
	v_fmac_f32_e32 v11, 0xbf06c442, v14
	v_add_f32_e32 v10, v18, v54
	v_sub_f32_e32 v14, v54, v18
	v_mul_f32_e32 v18, 0xbf7ee86f, v15
	v_add_f32_e32 v2, v11, v2
	v_add_f32_e32 v11, v19, v55
	v_mov_b32_e32 v19, v18
	v_fmac_f32_e32 v19, 0x3dbcf732, v10
	v_add_f32_e32 v7, v19, v7
	v_mul_f32_e32 v19, 0x3dbcf732, v11
	v_mov_b32_e32 v54, v19
	v_fma_f32 v18, v10, s9, -v18
	v_fmac_f32_e32 v19, 0xbf7ee86f, v14
	v_add_f32_e32 v6, v18, v6
	v_add_f32_e32 v18, v19, v58
	v_mul_f32_e32 v19, 0xbe3c28d5, v15
	v_mov_b32_e32 v55, v19
	v_fmac_f32_e32 v55, 0xbf7ba420, v10
	v_mul_f32_e32 v58, 0xbf7ba420, v11
	v_fma_f32 v19, v10, s17, -v19
	v_add_f32_e32 v55, v55, v62
	v_mov_b32_e32 v62, v58
	v_add_f32_e32 v19, v19, v59
	v_fmac_f32_e32 v58, 0xbe3c28d5, v14
	v_mul_f32_e32 v59, 0x3f763a35, v15
	v_fmac_f32_e32 v54, 0x3f7ee86f, v14
	v_add_f32_e32 v58, v58, v63
	v_mov_b32_e32 v63, v59
	v_fma_f32 v59, v10, s14, -v59
	v_add_f32_e32 v54, v54, v80
	v_fmac_f32_e32 v62, 0x3e3c28d5, v14
	v_fmac_f32_e32 v63, 0xbe8c1d8e, v10
	v_mul_f32_e32 v80, 0xbe8c1d8e, v11
	v_add_f32_e32 v59, v59, v81
	v_mul_f32_e32 v81, 0x3eb8f4ab, v15
	v_add_f32_e32 v62, v62, v82
	v_add_f32_e32 v63, v63, v83
	v_mov_b32_e32 v82, v80
	v_fmac_f32_e32 v80, 0x3f763a35, v14
	v_mov_b32_e32 v83, v81
	v_fma_f32 v81, v10, s6, -v81
	v_fmac_f32_e32 v82, 0xbf763a35, v14
	v_add_f32_e32 v80, v80, v84
	v_fmac_f32_e32 v83, 0x3f6eb680, v10
	v_mul_f32_e32 v84, 0x3f6eb680, v11
	v_add_f32_e32 v81, v81, v86
	v_mul_f32_e32 v86, 0xbf65296c, v15
	v_add_f32_e32 v82, v82, v85
	v_add_f32_e32 v83, v83, v87
	v_mov_b32_e32 v85, v84
	v_fmac_f32_e32 v84, 0x3eb8f4ab, v14
	v_mov_b32_e32 v87, v86
	v_fma_f32 v86, v10, s8, -v86
	v_fmac_f32_e32 v85, 0xbeb8f4ab, v14
	v_add_f32_e32 v84, v84, v88
	;; [unrolled: 12-line block ×3, first 2 shown]
	v_fmac_f32_e32 v91, 0xbf59a7d5, v10
	v_mul_f32_e32 v92, 0xbf59a7d5, v11
	v_add_f32_e32 v90, v90, v94
	v_mul_f32_e32 v94, 0x3f4c4adb, v15
	v_add_f32_e32 v89, v89, v93
	v_add_f32_e32 v91, v91, v95
	v_mov_b32_e32 v93, v92
	v_fmac_f32_e32 v92, 0xbf06c442, v14
	v_mov_b32_e32 v95, v94
	v_fma_f32 v94, v10, s15, -v94
	v_mul_f32_e32 v15, 0x3f2c7751, v15
	v_fmac_f32_e32 v93, 0x3f06c442, v14
	v_add_f32_e32 v92, v92, v96
	v_fmac_f32_e32 v95, 0xbf1a4643, v10
	v_mul_f32_e32 v96, 0xbf1a4643, v11
	v_add_f32_e32 v94, v94, v98
	v_mov_b32_e32 v98, v15
	v_mul_f32_e32 v11, 0x3f3d2fb0, v11
	v_add_f32_e32 v93, v93, v97
	v_add_f32_e32 v95, v95, v99
	v_mov_b32_e32 v97, v96
	v_fmac_f32_e32 v98, 0x3f3d2fb0, v10
	v_mov_b32_e32 v99, v11
	v_fma_f32 v10, v10, s7, -v15
	v_sub_f32_e32 v15, v51, v23
	v_fmac_f32_e32 v97, 0xbf4c4adb, v14
	v_fmac_f32_e32 v96, 0x3f4c4adb, v14
	;; [unrolled: 1-line block ×3, first 2 shown]
	v_add_f32_e32 v3, v10, v3
	v_fmac_f32_e32 v11, 0x3f2c7751, v14
	v_add_f32_e32 v10, v22, v50
	v_sub_f32_e32 v14, v50, v22
	v_mul_f32_e32 v22, 0xbf763a35, v15
	v_add_f32_e32 v2, v11, v2
	v_add_f32_e32 v11, v23, v51
	v_mov_b32_e32 v23, v22
	v_fmac_f32_e32 v23, 0xbe8c1d8e, v10
	v_add_f32_e32 v7, v23, v7
	v_mul_f32_e32 v23, 0xbe8c1d8e, v11
	v_mov_b32_e32 v50, v23
	v_fma_f32 v22, v10, s14, -v22
	v_fmac_f32_e32 v50, 0x3f763a35, v14
	v_add_f32_e32 v6, v22, v6
	v_fmac_f32_e32 v23, 0xbf763a35, v14
	v_mul_f32_e32 v22, 0x3f06c442, v15
	v_mul_f32_e32 v51, 0xbf59a7d5, v11
	v_add_f32_e32 v50, v50, v54
	v_add_f32_e32 v18, v23, v18
	v_mov_b32_e32 v23, v22
	v_mov_b32_e32 v54, v51
	v_fma_f32 v22, v10, s16, -v22
	v_fmac_f32_e32 v51, 0x3f06c442, v14
	v_fmac_f32_e32 v23, 0xbf59a7d5, v10
	v_add_f32_e32 v19, v22, v19
	v_add_f32_e32 v22, v51, v58
	v_mul_f32_e32 v51, 0x3f2c7751, v15
	v_add_f32_e32 v23, v23, v55
	v_mov_b32_e32 v55, v51
	v_fma_f32 v51, v10, s7, -v51
	v_fmac_f32_e32 v54, 0xbf06c442, v14
	v_fmac_f32_e32 v55, 0x3f3d2fb0, v10
	v_mul_f32_e32 v58, 0x3f3d2fb0, v11
	v_add_f32_e32 v51, v51, v59
	v_mul_f32_e32 v59, 0xbf65296c, v15
	v_add_f32_e32 v54, v54, v62
	v_add_f32_e32 v55, v55, v63
	v_mov_b32_e32 v62, v58
	v_fmac_f32_e32 v58, 0x3f2c7751, v14
	v_mov_b32_e32 v63, v59
	v_fma_f32 v59, v10, s8, -v59
	v_fmac_f32_e32 v62, 0xbf2c7751, v14
	v_add_f32_e32 v58, v58, v80
	v_fmac_f32_e32 v63, 0x3ee437d1, v10
	v_mul_f32_e32 v80, 0x3ee437d1, v11
	v_add_f32_e32 v59, v59, v81
	v_mul_f32_e32 v81, 0xbe3c28d5, v15
	v_add_f32_e32 v62, v62, v82
	v_add_f32_e32 v63, v63, v83
	v_mov_b32_e32 v82, v80
	v_fmac_f32_e32 v80, 0xbf65296c, v14
	v_mov_b32_e32 v83, v81
	v_fma_f32 v81, v10, s17, -v81
	v_fmac_f32_e32 v82, 0x3f65296c, v14
	v_add_f32_e32 v80, v80, v84
	;; [unrolled: 12-line block ×3, first 2 shown]
	v_fmac_f32_e32 v87, 0x3dbcf732, v10
	v_mul_f32_e32 v88, 0x3dbcf732, v11
	v_add_f32_e32 v86, v86, v90
	v_mul_f32_e32 v90, 0xbeb8f4ab, v15
	v_add_f32_e32 v85, v85, v89
	v_add_f32_e32 v87, v87, v91
	v_mov_b32_e32 v89, v88
	v_fmac_f32_e32 v88, 0x3f7ee86f, v14
	v_mov_b32_e32 v91, v90
	v_fma_f32 v90, v10, s6, -v90
	v_mul_f32_e32 v15, 0xbf4c4adb, v15
	v_fmac_f32_e32 v89, 0xbf7ee86f, v14
	v_add_f32_e32 v88, v88, v92
	v_fmac_f32_e32 v91, 0x3f6eb680, v10
	v_mul_f32_e32 v92, 0x3f6eb680, v11
	v_add_f32_e32 v90, v90, v94
	v_mov_b32_e32 v94, v15
	v_mul_f32_e32 v11, 0xbf1a4643, v11
	v_add_f32_e32 v89, v89, v93
	v_add_f32_e32 v91, v91, v95
	v_mov_b32_e32 v93, v92
	v_fmac_f32_e32 v94, 0xbf1a4643, v10
	v_mov_b32_e32 v95, v11
	v_fma_f32 v10, v10, s15, -v15
	v_sub_f32_e32 v15, v47, v31
	v_fmac_f32_e32 v93, 0x3eb8f4ab, v14
	v_fmac_f32_e32 v92, 0xbeb8f4ab, v14
	;; [unrolled: 1-line block ×3, first 2 shown]
	v_add_f32_e32 v3, v10, v3
	v_fmac_f32_e32 v11, 0xbf4c4adb, v14
	v_add_f32_e32 v10, v30, v46
	v_sub_f32_e32 v14, v46, v30
	v_mul_f32_e32 v30, 0xbf4c4adb, v15
	v_add_f32_e32 v2, v11, v2
	v_add_f32_e32 v11, v31, v47
	v_mov_b32_e32 v31, v30
	v_fmac_f32_e32 v31, 0xbf1a4643, v10
	v_add_f32_e32 v7, v31, v7
	v_mul_f32_e32 v31, 0xbf1a4643, v11
	v_fma_f32 v30, v10, s15, -v30
	v_mov_b32_e32 v46, v31
	v_add_f32_e32 v6, v30, v6
	v_fmac_f32_e32 v31, 0xbf4c4adb, v14
	v_mul_f32_e32 v30, 0x3f763a35, v15
	v_add_f32_e32 v18, v31, v18
	v_mov_b32_e32 v31, v30
	v_fmac_f32_e32 v31, 0xbe8c1d8e, v10
	v_add_f32_e32 v23, v31, v23
	v_mul_f32_e32 v31, 0xbe8c1d8e, v11
	v_fma_f32 v30, v10, s14, -v30
	v_mov_b32_e32 v47, v31
	v_add_f32_e32 v19, v30, v19
	v_fmac_f32_e32 v31, 0x3f763a35, v14
	v_mul_f32_e32 v30, 0xbeb8f4ab, v15
	v_fmac_f32_e32 v46, 0x3f4c4adb, v14
	v_add_f32_e32 v22, v31, v22
	v_mov_b32_e32 v31, v30
	v_fma_f32 v30, v10, s6, -v30
	v_add_f32_e32 v46, v46, v50
	v_fmac_f32_e32 v47, 0xbf763a35, v14
	v_fmac_f32_e32 v31, 0x3f6eb680, v10
	v_mul_f32_e32 v50, 0x3f6eb680, v11
	v_add_f32_e32 v30, v30, v51
	v_mul_f32_e32 v51, 0xbf06c442, v15
	v_add_f32_e32 v47, v47, v54
	v_add_f32_e32 v31, v31, v55
	v_mov_b32_e32 v54, v50
	v_fmac_f32_e32 v50, 0xbeb8f4ab, v14
	v_mov_b32_e32 v55, v51
	v_fma_f32 v51, v10, s16, -v51
	v_fmac_f32_e32 v54, 0x3eb8f4ab, v14
	v_add_f32_e32 v50, v50, v58
	v_fmac_f32_e32 v55, 0xbf59a7d5, v10
	v_mul_f32_e32 v58, 0xbf59a7d5, v11
	v_add_f32_e32 v51, v51, v59
	v_mul_f32_e32 v59, 0x3f7ee86f, v15
	v_add_f32_e32 v54, v54, v62
	v_add_f32_e32 v55, v55, v63
	v_mov_b32_e32 v62, v58
	v_fmac_f32_e32 v58, 0xbf06c442, v14
	v_mov_b32_e32 v63, v59
	v_fma_f32 v59, v10, s9, -v59
	v_fmac_f32_e32 v62, 0x3f06c442, v14
	v_add_f32_e32 v58, v58, v80
	;; [unrolled: 12-line block ×3, first 2 shown]
	v_fmac_f32_e32 v83, 0x3f3d2fb0, v10
	v_mul_f32_e32 v84, 0x3f3d2fb0, v11
	v_add_f32_e32 v81, v81, v86
	v_mul_f32_e32 v86, 0xbe3c28d5, v15
	v_add_f32_e32 v82, v82, v85
	v_add_f32_e32 v83, v83, v87
	v_mov_b32_e32 v85, v84
	v_fmac_f32_e32 v84, 0xbf2c7751, v14
	v_mov_b32_e32 v87, v86
	v_fma_f32 v86, v10, s17, -v86
	v_mul_f32_e32 v15, 0x3f65296c, v15
	v_fmac_f32_e32 v85, 0x3f2c7751, v14
	v_add_f32_e32 v84, v84, v88
	v_fmac_f32_e32 v87, 0xbf7ba420, v10
	v_mul_f32_e32 v88, 0xbf7ba420, v11
	v_add_f32_e32 v86, v86, v90
	v_mov_b32_e32 v90, v15
	v_mul_f32_e32 v11, 0x3ee437d1, v11
	v_add_f32_e32 v85, v85, v89
	v_add_f32_e32 v87, v87, v91
	v_mov_b32_e32 v89, v88
	v_fmac_f32_e32 v90, 0x3ee437d1, v10
	v_mov_b32_e32 v91, v11
	v_fma_f32 v10, v10, s8, -v15
	v_sub_f32_e32 v15, v43, v27
	v_fmac_f32_e32 v89, 0x3e3c28d5, v14
	v_fmac_f32_e32 v88, 0xbe3c28d5, v14
	;; [unrolled: 1-line block ×3, first 2 shown]
	v_add_f32_e32 v3, v10, v3
	v_fmac_f32_e32 v11, 0x3f65296c, v14
	v_add_f32_e32 v10, v26, v42
	v_sub_f32_e32 v14, v42, v26
	v_mul_f32_e32 v26, 0xbf06c442, v15
	v_add_f32_e32 v2, v11, v2
	v_add_f32_e32 v11, v27, v43
	v_mov_b32_e32 v27, v26
	v_fmac_f32_e32 v27, 0xbf59a7d5, v10
	v_add_f32_e32 v7, v27, v7
	v_mul_f32_e32 v27, 0xbf59a7d5, v11
	v_fma_f32 v26, v10, s16, -v26
	v_mov_b32_e32 v42, v27
	v_add_f32_e32 v6, v26, v6
	v_fmac_f32_e32 v27, 0xbf06c442, v14
	v_mul_f32_e32 v26, 0x3f65296c, v15
	v_add_f32_e32 v18, v27, v18
	v_mov_b32_e32 v27, v26
	v_fmac_f32_e32 v27, 0x3ee437d1, v10
	v_add_f32_e32 v23, v27, v23
	v_mul_f32_e32 v27, 0x3ee437d1, v11
	v_fma_f32 v26, v10, s8, -v26
	v_mov_b32_e32 v43, v27
	v_add_f32_e32 v19, v26, v19
	v_fmac_f32_e32 v27, 0x3f65296c, v14
	v_mul_f32_e32 v26, 0xbf7ee86f, v15
	v_add_f32_e32 v22, v27, v22
	v_mov_b32_e32 v27, v26
	v_fmac_f32_e32 v27, 0x3dbcf732, v10
	v_add_f32_e32 v105, v105, v109
	v_fmac_f32_e32 v42, 0x3f06c442, v14
	v_add_f32_e32 v27, v27, v31
	v_mul_f32_e32 v31, 0x3dbcf732, v11
	v_add_f32_e32 v101, v101, v105
	v_add_f32_e32 v42, v42, v46
	v_mov_b32_e32 v46, v31
	v_fma_f32 v26, v10, s9, -v26
	v_fmac_f32_e32 v31, 0xbf7ee86f, v14
	v_add_f32_e32 v97, v97, v101
	v_fmac_f32_e32 v46, 0x3f7ee86f, v14
	v_add_f32_e32 v26, v26, v30
	v_add_f32_e32 v30, v31, v50
	v_mul_f32_e32 v50, 0xbf1a4643, v11
	v_add_f32_e32 v106, v106, v110
	v_add_f32_e32 v93, v93, v97
	v_fmac_f32_e32 v43, 0xbf65296c, v14
	v_add_f32_e32 v46, v46, v54
	v_mul_f32_e32 v31, 0x3f4c4adb, v15
	v_mov_b32_e32 v54, v50
	v_fmac_f32_e32 v50, 0x3f4c4adb, v14
	v_add_f32_e32 v104, v104, v108
	v_add_f32_e32 v107, v107, v111
	;; [unrolled: 1-line block ×5, first 2 shown]
	v_mov_b32_e32 v47, v31
	v_fma_f32 v31, v10, s15, -v31
	v_add_f32_e32 v93, v50, v58
	v_mul_f32_e32 v50, 0xbeb8f4ab, v15
	v_add_f32_e32 v100, v100, v104
	v_add_f32_e32 v103, v103, v107
	;; [unrolled: 1-line block ×4, first 2 shown]
	v_mov_b32_e32 v51, v50
	v_add_f32_e32 v96, v96, v100
	v_add_f32_e32 v99, v99, v103
	;; [unrolled: 1-line block ×3, first 2 shown]
	v_fmac_f32_e32 v51, 0x3f6eb680, v10
	v_add_f32_e32 v92, v92, v96
	v_add_f32_e32 v95, v95, v99
	;; [unrolled: 1-line block ×3, first 2 shown]
	v_fmac_f32_e32 v54, 0xbf4c4adb, v14
	v_add_f32_e32 v94, v51, v63
	v_mul_f32_e32 v51, 0x3f6eb680, v11
	v_fma_f32 v50, v10, s6, -v50
	v_add_f32_e32 v88, v88, v92
	v_add_f32_e32 v91, v91, v95
	v_add_f32_e32 v92, v54, v62
	v_mov_b32_e32 v54, v51
	v_add_f32_e32 v95, v50, v59
	v_fmac_f32_e32 v51, 0xbeb8f4ab, v14
	v_mul_f32_e32 v50, 0xbe3c28d5, v15
	v_add_f32_e32 v96, v51, v80
	v_mov_b32_e32 v51, v50
	v_fmac_f32_e32 v51, 0xbf7ba420, v10
	v_fmac_f32_e32 v54, 0x3eb8f4ab, v14
	v_add_f32_e32 v83, v51, v83
	v_mul_f32_e32 v51, 0xbf7ba420, v11
	v_fma_f32 v50, v10, s17, -v50
	v_add_f32_e32 v82, v54, v82
	v_mov_b32_e32 v54, v51
	v_add_f32_e32 v97, v50, v81
	v_fmac_f32_e32 v51, 0xbe3c28d5, v14
	v_mul_f32_e32 v50, 0x3f2c7751, v15
	v_add_f32_e32 v84, v51, v84
	v_mov_b32_e32 v51, v50
	v_fma_f32 v50, v10, s7, -v50
	v_mul_f32_e32 v15, 0xbf763a35, v15
	v_fmac_f32_e32 v51, 0x3f3d2fb0, v10
	v_add_f32_e32 v86, v50, v86
	v_mov_b32_e32 v50, v15
	v_add_f32_e32 v87, v51, v87
	v_mul_f32_e32 v51, 0x3f3d2fb0, v11
	v_fmac_f32_e32 v50, 0xbe8c1d8e, v10
	v_mul_f32_e32 v11, 0xbe8c1d8e, v11
	v_add_f32_e32 v90, v50, v90
	v_mov_b32_e32 v50, v11
	v_fmac_f32_e32 v11, 0xbf763a35, v14
	v_add_f32_e32 v100, v34, v38
	v_sub_f32_e32 v102, v38, v34
	v_sub_f32_e32 v34, v39, v35
	v_fmac_f32_e32 v47, 0xbf1a4643, v10
	v_fma_f32 v10, v10, s14, -v15
	v_add_f32_e32 v99, v11, v2
	v_mul_f32_e32 v2, 0xbe3c28d5, v34
	v_add_f32_e32 v98, v10, v3
	v_mov_b32_e32 v3, v2
	v_fmac_f32_e32 v50, 0x3f763a35, v14
	v_add_f32_e32 v101, v35, v39
	v_fmac_f32_e32 v3, 0xbf7ba420, v100
	v_add_f32_e32 v91, v50, v91
	v_add_f32_e32 v50, v3, v7
	v_mul_f32_e32 v3, 0xbf7ba420, v101
	v_fmac_f32_e32 v54, 0x3e3c28d5, v14
	v_mov_b32_e32 v7, v3
	v_fma_f32 v2, v100, s17, -v2
	v_add_f32_e32 v85, v54, v85
	v_mov_b32_e32 v54, v51
	v_fmac_f32_e32 v51, 0x3f2c7751, v14
	v_fmac_f32_e32 v7, 0x3e3c28d5, v102
	v_add_f32_e32 v2, v2, v6
	v_mul_f32_e32 v6, 0x3eb8f4ab, v34
	v_add_f32_e32 v88, v51, v88
	v_add_f32_e32 v51, v7, v42
	v_mov_b32_e32 v7, v6
	v_fmac_f32_e32 v54, 0xbf2c7751, v14
	v_fmac_f32_e32 v7, 0x3f6eb680, v100
	v_add_f32_e32 v89, v54, v89
	v_add_f32_e32 v54, v7, v23
	v_mul_f32_e32 v7, 0x3f6eb680, v101
	v_mov_b32_e32 v10, v7
	v_fmac_f32_e32 v10, 0xbeb8f4ab, v102
	v_add_f32_e32 v47, v47, v55
	v_add_f32_e32 v55, v10, v43
	v_mul_f32_e32 v10, 0xbf06c442, v34
	v_mov_b32_e32 v11, v10
	v_fmac_f32_e32 v11, 0xbf59a7d5, v100
	v_add_f32_e32 v58, v11, v27
	v_mul_f32_e32 v11, 0xbf59a7d5, v101
	v_mov_b32_e32 v14, v11
	v_fmac_f32_e32 v14, 0x3f06c442, v102
	;; [unrolled: 4-line block ×3, first 2 shown]
	v_fmac_f32_e32 v3, 0xbe3c28d5, v102
	v_add_f32_e32 v62, v15, v47
	v_mul_f32_e32 v15, 0x3f3d2fb0, v101
	v_add_f32_e32 v3, v3, v18
	v_mov_b32_e32 v18, v15
	v_fmac_f32_e32 v18, 0xbf2c7751, v102
	v_fma_f32 v6, v100, s6, -v6
	v_add_f32_e32 v63, v18, v92
	v_mul_f32_e32 v18, 0xbf4c4adb, v34
	v_add_f32_e32 v6, v6, v19
	v_mov_b32_e32 v19, v18
	v_fmac_f32_e32 v19, 0xbf1a4643, v100
	v_fmac_f32_e32 v7, 0x3eb8f4ab, v102
	v_add_f32_e32 v80, v19, v94
	v_mul_f32_e32 v19, 0xbf1a4643, v101
	v_add_f32_e32 v7, v7, v22
	v_mov_b32_e32 v22, v19
	v_fmac_f32_e32 v22, 0x3f4c4adb, v102
	v_add_f32_e32 v81, v22, v82
	v_mul_f32_e32 v22, 0x3f65296c, v34
	v_mov_b32_e32 v23, v22
	v_fmac_f32_e32 v23, 0x3ee437d1, v100
	v_fma_f32 v10, v100, s16, -v10
	v_add_f32_e32 v38, v23, v83
	v_mul_f32_e32 v23, 0x3ee437d1, v101
	v_add_f32_e32 v10, v10, v26
	v_mov_b32_e32 v26, v23
	v_fmac_f32_e32 v26, 0xbf65296c, v102
	v_add_f32_e32 v39, v26, v85
	v_mul_f32_e32 v26, 0xbf763a35, v34
	v_mov_b32_e32 v27, v26
	v_fmac_f32_e32 v27, 0xbe8c1d8e, v100
	v_fmac_f32_e32 v11, 0xbf06c442, v102
	v_add_f32_e32 v42, v27, v87
	v_mul_f32_e32 v27, 0xbe8c1d8e, v101
	v_add_f32_e32 v11, v11, v30
	v_mov_b32_e32 v30, v27
	v_fma_f32 v14, v100, s7, -v14
	v_fmac_f32_e32 v30, 0x3f763a35, v102
	v_mul_f32_e32 v34, 0x3f7ee86f, v34
	v_mul_f32_e32 v35, 0x3dbcf732, v101
	v_add_f32_e32 v14, v14, v31
	v_add_f32_e32 v43, v30, v89
	v_mov_b32_e32 v30, v34
	v_mov_b32_e32 v31, v35
	s_movk_i32 s0, 0x88
	v_fmac_f32_e32 v15, 0x3f2c7751, v102
	v_fma_f32 v18, v100, s15, -v18
	v_fmac_f32_e32 v19, 0xbf4c4adb, v102
	v_fma_f32 v22, v100, s8, -v22
	;; [unrolled: 2-line block ×3, first 2 shown]
	v_fmac_f32_e32 v27, 0xbf763a35, v102
	v_fmac_f32_e32 v30, 0x3dbcf732, v100
	;; [unrolled: 1-line block ×3, first 2 shown]
	v_fma_f32 v34, v100, s9, -v34
	v_fmac_f32_e32 v35, 0x3f7ee86f, v102
	v_mad_u32_u24 v46, v66, s0, v76
	v_cmp_gt_u32_e64 s[0:1], 7, v66
	v_add_f32_e32 v15, v15, v93
	v_add_f32_e32 v18, v18, v95
	;; [unrolled: 1-line block ×11, first 2 shown]
	s_waitcnt lgkmcnt(0)
	; wave barrier
	s_waitcnt lgkmcnt(0)
	ds_write2_b64 v46, v[74:75], v[50:51] offset1:1
	ds_write2_b64 v46, v[54:55], v[58:59] offset0:2 offset1:3
	ds_write2_b64 v46, v[62:63], v[80:81] offset0:4 offset1:5
	;; [unrolled: 1-line block ×7, first 2 shown]
	ds_write_b64 v46, v[2:3] offset:128
	s_and_saveexec_b64 s[4:5], s[0:1]
	s_cbranch_execz .LBB0_14
; %bb.13:
	v_add_f32_e32 v82, v73, v61
	v_mul_f32_e32 v43, 0xbf7ba420, v82
	v_add_f32_e32 v83, v5, v57
	v_sub_f32_e32 v14, v60, v72
	v_mov_b32_e32 v2, v43
	v_mul_f32_e32 v46, 0x3f6eb680, v83
	v_fmac_f32_e32 v2, 0x3e3c28d5, v14
	v_sub_f32_e32 v15, v56, v4
	v_mov_b32_e32 v3, v46
	v_add_f32_e32 v84, v9, v53
	v_add_f32_e32 v2, v1, v2
	v_fmac_f32_e32 v3, 0xbeb8f4ab, v15
	v_mul_f32_e32 v50, 0xbf59a7d5, v84
	v_add_f32_e32 v2, v3, v2
	v_sub_f32_e32 v18, v52, v8
	v_mov_b32_e32 v3, v50
	v_add_f32_e32 v85, v13, v49
	v_fmac_f32_e32 v3, 0x3f06c442, v18
	v_mul_f32_e32 v51, 0x3f3d2fb0, v85
	v_add_f32_e32 v2, v3, v2
	v_sub_f32_e32 v19, v48, v12
	v_mov_b32_e32 v3, v51
	;; [unrolled: 6-line block ×6, first 2 shown]
	v_sub_f32_e32 v89, v61, v73
	v_fmac_f32_e32 v3, 0xbf7ee86f, v27
	v_mul_f32_e32 v59, 0xbe3c28d5, v89
	v_sub_f32_e32 v90, v57, v5
	v_add_f32_e32 v3, v3, v2
	v_add_f32_e32 v30, v72, v60
	v_mov_b32_e32 v2, v59
	v_mul_f32_e32 v62, 0x3eb8f4ab, v90
	v_fmac_f32_e32 v2, 0xbf7ba420, v30
	v_add_f32_e32 v31, v4, v56
	v_mov_b32_e32 v6, v62
	v_sub_f32_e32 v91, v53, v9
	v_add_f32_e32 v2, v0, v2
	v_fmac_f32_e32 v6, 0x3f6eb680, v31
	v_mul_f32_e32 v63, 0xbf06c442, v91
	v_add_f32_e32 v2, v6, v2
	v_add_f32_e32 v34, v8, v52
	v_mov_b32_e32 v6, v63
	v_sub_f32_e32 v92, v49, v13
	v_fmac_f32_e32 v6, 0xbf59a7d5, v34
	v_mul_f32_e32 v74, 0x3f2c7751, v92
	v_add_f32_e32 v2, v6, v2
	v_add_f32_e32 v35, v12, v48
	v_mov_b32_e32 v6, v74
	v_sub_f32_e32 v93, v45, v17
	;; [unrolled: 6-line block ×3, first 2 shown]
	v_fmac_f32_e32 v6, 0xbf1a4643, v38
	v_mul_f32_e32 v80, 0x3f65296c, v94
	v_add_f32_e32 v2, v6, v2
	v_add_f32_e32 v39, v20, v40
	v_mov_b32_e32 v6, v80
	v_fmac_f32_e32 v6, 0x3ee437d1, v39
	v_sub_f32_e32 v95, v37, v29
	v_add_f32_e32 v2, v6, v2
	v_add_f32_e32 v6, v1, v61
	v_mul_f32_e32 v61, 0xbf763a35, v95
	v_add_f32_e32 v42, v28, v36
	v_mov_b32_e32 v10, v61
	v_sub_f32_e32 v100, v33, v25
	v_fmac_f32_e32 v10, 0xbe8c1d8e, v42
	v_mul_f32_e32 v96, 0x3f7ee86f, v100
	v_add_f32_e32 v7, v0, v60
	v_add_f32_e32 v2, v10, v2
	;; [unrolled: 1-line block ×3, first 2 shown]
	v_mov_b32_e32 v10, v96
	v_fmac_f32_e32 v10, 0x3dbcf732, v60
	v_add_f32_e32 v7, v7, v56
	v_mul_f32_e32 v56, 0xbf59a7d5, v82
	v_add_f32_e32 v2, v10, v2
	v_add_f32_e32 v6, v6, v57
	v_mov_b32_e32 v10, v56
	v_mul_f32_e32 v57, 0x3ee437d1, v83
	v_fmac_f32_e32 v10, 0x3f06c442, v14
	v_mov_b32_e32 v11, v57
	v_add_f32_e32 v10, v1, v10
	v_fmac_f32_e32 v11, 0xbf65296c, v15
	v_mul_f32_e32 v97, 0x3dbcf732, v84
	v_add_f32_e32 v10, v11, v10
	v_mov_b32_e32 v11, v97
	v_fmac_f32_e32 v11, 0x3f7ee86f, v18
	v_add_f32_e32 v7, v7, v52
	v_mul_f32_e32 v52, 0xbf1a4643, v85
	v_add_f32_e32 v10, v11, v10
	v_mov_b32_e32 v11, v52
	v_add_f32_e32 v6, v6, v53
	v_fmac_f32_e32 v11, 0xbf4c4adb, v19
	v_mul_f32_e32 v53, 0x3f6eb680, v86
	v_add_f32_e32 v10, v11, v10
	v_mov_b32_e32 v11, v53
	v_fmac_f32_e32 v11, 0x3eb8f4ab, v22
	v_mul_f32_e32 v98, 0xbf7ba420, v87
	v_add_f32_e32 v10, v11, v10
	v_mov_b32_e32 v11, v98
	;; [unrolled: 4-line block ×3, first 2 shown]
	v_fmac_f32_e32 v11, 0xbf2c7751, v26
	v_add_f32_e32 v6, v6, v49
	v_mul_f32_e32 v49, 0xbf06c442, v89
	v_add_f32_e32 v10, v11, v10
	v_add_f32_e32 v7, v7, v48
	v_mov_b32_e32 v11, v49
	v_mul_f32_e32 v101, 0x3f65296c, v90
	v_fmac_f32_e32 v11, 0xbf59a7d5, v30
	v_mov_b32_e32 v48, v101
	v_add_f32_e32 v103, v7, v44
	v_mul_f32_e32 v44, 0xbf7ee86f, v91
	v_add_f32_e32 v11, v0, v11
	v_fmac_f32_e32 v48, 0x3ee437d1, v31
	v_mov_b32_e32 v7, v44
	v_add_f32_e32 v11, v48, v11
	v_add_f32_e32 v6, v6, v45
	v_fmac_f32_e32 v7, 0x3dbcf732, v34
	v_mul_f32_e32 v45, 0x3f4c4adb, v92
	v_add_f32_e32 v7, v7, v11
	v_mov_b32_e32 v11, v45
	v_fmac_f32_e32 v11, 0xbf1a4643, v35
	v_mul_f32_e32 v102, 0xbeb8f4ab, v93
	v_add_f32_e32 v7, v11, v7
	v_mov_b32_e32 v11, v102
	v_mul_f32_e32 v48, 0xbe8c1d8e, v81
	v_fmac_f32_e32 v11, 0x3f6eb680, v38
	v_add_f32_e32 v11, v11, v7
	v_mov_b32_e32 v7, v48
	v_fmac_f32_e32 v7, 0x3f763a35, v27
	v_add_f32_e32 v105, v103, v40
	v_mul_f32_e32 v40, 0xbe3c28d5, v94
	v_add_f32_e32 v7, v7, v10
	v_add_f32_e32 v10, v6, v41
	v_mov_b32_e32 v6, v40
	v_fmac_f32_e32 v6, 0xbf7ba420, v39
	v_mul_f32_e32 v41, 0x3f2c7751, v95
	v_add_f32_e32 v6, v6, v11
	v_mov_b32_e32 v11, v41
	v_fmac_f32_e32 v11, 0x3f3d2fb0, v42
	v_mul_f32_e32 v103, 0xbf763a35, v100
	;; [unrolled: 4-line block ×3, first 2 shown]
	v_add_f32_e32 v6, v11, v6
	v_mov_b32_e32 v11, v104
	v_add_f32_e32 v107, v105, v36
	v_mul_f32_e32 v36, 0xbe8c1d8e, v83
	v_fmac_f32_e32 v11, 0x3f4c4adb, v14
	v_add_f32_e32 v10, v10, v37
	v_mov_b32_e32 v37, v36
	v_add_f32_e32 v11, v1, v11
	v_fmac_f32_e32 v37, 0xbf763a35, v15
	v_add_f32_e32 v11, v37, v11
	v_mul_f32_e32 v37, 0x3f6eb680, v84
	v_mov_b32_e32 v105, v37
	v_fmac_f32_e32 v105, 0x3eb8f4ab, v18
	v_add_f32_e32 v11, v105, v11
	v_mul_f32_e32 v105, 0xbf59a7d5, v85
	v_mov_b32_e32 v106, v105
	;; [unrolled: 4-line block ×3, first 2 shown]
	v_fmac_f32_e32 v108, 0xbf7ee86f, v22
	v_add_f32_e32 v11, v108, v11
	v_add_f32_e32 v108, v107, v32
	v_mul_f32_e32 v32, 0x3f3d2fb0, v87
	v_add_f32_e32 v10, v10, v33
	v_mov_b32_e32 v33, v32
	v_fmac_f32_e32 v33, 0x3f2c7751, v23
	v_mul_f32_e32 v107, 0xbf7ba420, v88
	v_add_f32_e32 v11, v33, v11
	v_mov_b32_e32 v33, v107
	v_fmac_f32_e32 v33, 0x3e3c28d5, v26
	v_add_f32_e32 v11, v33, v11
	v_mul_f32_e32 v33, 0xbf4c4adb, v89
	v_mov_b32_e32 v109, v33
	v_add_f32_e32 v10, v10, v25
	v_mul_f32_e32 v25, 0x3f763a35, v90
	v_fmac_f32_e32 v109, 0xbf1a4643, v30
	v_add_f32_e32 v110, v108, v24
	v_mov_b32_e32 v24, v25
	v_add_f32_e32 v109, v0, v109
	v_fmac_f32_e32 v24, 0xbe8c1d8e, v31
	v_mul_f32_e32 v108, 0xbeb8f4ab, v91
	v_add_f32_e32 v24, v24, v109
	v_mov_b32_e32 v109, v108
	v_fmac_f32_e32 v109, 0x3f6eb680, v34
	v_add_f32_e32 v24, v109, v24
	v_mul_f32_e32 v109, 0xbf06c442, v92
	v_mov_b32_e32 v111, v109
	v_add_f32_e32 v113, v110, v28
	v_mul_f32_e32 v28, 0x3f7ee86f, v93
	v_fmac_f32_e32 v111, 0xbf59a7d5, v35
	v_add_f32_e32 v112, v10, v29
	v_mov_b32_e32 v10, v28
	v_mul_f32_e32 v29, 0xbf2c7751, v94
	v_add_f32_e32 v111, v111, v24
	v_fmac_f32_e32 v10, 0x3dbcf732, v38
	v_mov_b32_e32 v110, v29
	v_add_f32_e32 v10, v10, v111
	v_fmac_f32_e32 v110, 0x3f3d2fb0, v39
	v_add_f32_e32 v10, v110, v10
	v_mul_f32_e32 v110, 0xbe3c28d5, v95
	v_mov_b32_e32 v111, v110
	v_mul_f32_e32 v24, 0x3ee437d1, v81
	v_fmac_f32_e32 v111, 0xbf7ba420, v42
	v_add_f32_e32 v10, v111, v10
	v_mov_b32_e32 v111, v24
	v_fmac_f32_e32 v111, 0xbf65296c, v27
	v_add_f32_e32 v11, v111, v11
	v_mul_f32_e32 v111, 0x3f65296c, v100
	v_mov_b32_e32 v114, v111
	v_fmac_f32_e32 v114, 0x3ee437d1, v60
	v_add_f32_e32 v113, v113, v20
	v_mul_f32_e32 v20, 0xbe8c1d8e, v82
	v_add_f32_e32 v10, v114, v10
	v_add_f32_e32 v114, v112, v21
	v_mov_b32_e32 v21, v20
	v_fmac_f32_e32 v21, 0x3f763a35, v14
	v_add_f32_e32 v112, v1, v21
	v_mul_f32_e32 v21, 0xbf59a7d5, v83
	v_mov_b32_e32 v115, v21
	v_fmac_f32_e32 v115, 0xbf06c442, v15
	v_add_f32_e32 v115, v115, v112
	v_mul_f32_e32 v112, 0x3f3d2fb0, v84
	v_mov_b32_e32 v116, v112
	v_add_f32_e32 v16, v113, v16
	v_mul_f32_e32 v113, 0x3ee437d1, v85
	v_fmac_f32_e32 v116, 0xbf2c7751, v18
	v_add_f32_e32 v17, v114, v17
	v_mov_b32_e32 v114, v113
	v_add_f32_e32 v115, v116, v115
	v_fmac_f32_e32 v114, 0x3f65296c, v19
	v_add_f32_e32 v114, v114, v115
	v_mul_f32_e32 v115, 0xbf7ba420, v86
	v_mov_b32_e32 v116, v115
	v_fmac_f32_e32 v116, 0x3e3c28d5, v22
	v_add_f32_e32 v114, v116, v114
	v_mul_f32_e32 v116, 0x3dbcf732, v87
	v_mov_b32_e32 v117, v116
	;; [unrolled: 4-line block ×3, first 2 shown]
	v_fmac_f32_e32 v118, 0x3eb8f4ab, v26
	v_add_f32_e32 v114, v118, v114
	v_mul_f32_e32 v118, 0xbf763a35, v89
	v_add_f32_e32 v12, v16, v12
	v_mov_b32_e32 v16, v118
	v_mul_f32_e32 v119, 0x3f06c442, v90
	v_add_f32_e32 v13, v17, v13
	v_fmac_f32_e32 v16, 0xbe8c1d8e, v30
	v_mov_b32_e32 v17, v119
	v_mul_f32_e32 v121, 0x3f2c7751, v91
	v_add_f32_e32 v16, v0, v16
	v_fmac_f32_e32 v17, 0xbf59a7d5, v31
	v_add_f32_e32 v13, v13, v9
	v_mov_b32_e32 v9, v121
	v_mul_f32_e32 v122, 0xbf65296c, v92
	v_add_f32_e32 v16, v17, v16
	v_add_f32_e32 v8, v12, v8
	v_fmac_f32_e32 v9, 0x3f3d2fb0, v34
	v_mov_b32_e32 v12, v122
	v_add_f32_e32 v9, v9, v16
	v_fmac_f32_e32 v12, 0x3ee437d1, v35
	v_mul_f32_e32 v123, 0xbe3c28d5, v93
	v_add_f32_e32 v9, v12, v9
	v_mov_b32_e32 v12, v123
	v_mul_f32_e32 v120, 0xbf1a4643, v81
	v_fmac_f32_e32 v12, 0xbf7ba420, v38
	v_add_f32_e32 v12, v12, v9
	v_mov_b32_e32 v9, v120
	v_fmac_f32_e32 v9, 0x3f4c4adb, v27
	v_add_f32_e32 v9, v9, v114
	v_mul_f32_e32 v114, 0x3f7ee86f, v94
	v_add_f32_e32 v4, v8, v4
	v_mov_b32_e32 v8, v114
	v_fmac_f32_e32 v8, 0x3dbcf732, v39
	v_mul_f32_e32 v124, 0xbeb8f4ab, v95
	v_add_f32_e32 v8, v8, v12
	v_mov_b32_e32 v12, v124
	v_fmac_f32_e32 v12, 0x3f6eb680, v42
	;; [unrolled: 4-line block ×3, first 2 shown]
	v_mul_f32_e32 v126, 0x3dbcf732, v82
	v_add_f32_e32 v8, v12, v8
	v_mov_b32_e32 v12, v126
	v_mul_f32_e32 v127, 0xbf7ba420, v83
	v_add_f32_e32 v5, v13, v5
	v_fmac_f32_e32 v12, 0x3f7ee86f, v14
	v_mov_b32_e32 v13, v127
	v_add_f32_e32 v12, v1, v12
	v_fmac_f32_e32 v13, 0x3e3c28d5, v15
	v_mul_f32_e32 v128, 0xbe8c1d8e, v84
	v_add_f32_e32 v12, v13, v12
	v_mov_b32_e32 v13, v128
	v_fmac_f32_e32 v13, 0xbf763a35, v18
	v_mul_f32_e32 v129, 0x3f6eb680, v85
	v_add_f32_e32 v12, v13, v12
	v_mov_b32_e32 v13, v129
	;; [unrolled: 4-line block ×6, first 2 shown]
	v_mul_f32_e32 v134, 0xbe3c28d5, v90
	v_fmac_f32_e32 v13, 0x3dbcf732, v30
	v_mov_b32_e32 v16, v134
	v_add_f32_e32 v13, v0, v13
	v_fmac_f32_e32 v16, 0xbf7ba420, v31
	v_mul_f32_e32 v135, 0x3f763a35, v91
	v_add_f32_e32 v13, v16, v13
	v_mov_b32_e32 v16, v135
	v_fmac_f32_e32 v16, 0xbe8c1d8e, v34
	v_mul_f32_e32 v136, 0x3eb8f4ab, v92
	v_add_f32_e32 v13, v16, v13
	v_mov_b32_e32 v16, v136
	;; [unrolled: 4-line block ×8, first 2 shown]
	v_mul_f32_e32 v143, 0xbf1a4643, v83
	v_fmac_f32_e32 v16, 0x3f65296c, v14
	v_mov_b32_e32 v17, v143
	v_add_f32_e32 v16, v1, v16
	v_fmac_f32_e32 v17, 0x3f4c4adb, v15
	v_mul_f32_e32 v144, 0xbf7ba420, v84
	v_add_f32_e32 v16, v17, v16
	v_mov_b32_e32 v17, v144
	v_fmac_f32_e32 v17, 0xbe3c28d5, v18
	v_mul_f32_e32 v145, 0xbe8c1d8e, v85
	v_add_f32_e32 v16, v17, v16
	v_mov_b32_e32 v17, v145
	;; [unrolled: 4-line block ×6, first 2 shown]
	v_mul_f32_e32 v150, 0xbf4c4adb, v90
	v_add_f32_e32 v4, v4, v72
	v_fmac_f32_e32 v17, 0x3ee437d1, v30
	v_mov_b32_e32 v72, v150
	v_add_f32_e32 v17, v0, v17
	v_fmac_f32_e32 v72, 0xbf1a4643, v31
	v_mul_f32_e32 v151, 0x3e3c28d5, v91
	v_add_f32_e32 v17, v72, v17
	v_mov_b32_e32 v72, v151
	v_fmac_f32_e32 v72, 0xbf7ba420, v34
	v_mul_f32_e32 v152, 0x3f763a35, v92
	v_add_f32_e32 v17, v72, v17
	v_mov_b32_e32 v72, v152
	v_fmac_f32_e32 v43, 0xbe3c28d5, v14
	v_fmac_f32_e32 v72, 0xbe8c1d8e, v35
	v_mul_f32_e32 v153, 0x3f2c7751, v93
	v_add_f32_e32 v43, v1, v43
	v_fmac_f32_e32 v46, 0x3eb8f4ab, v15
	v_add_f32_e32 v17, v72, v17
	v_mov_b32_e32 v72, v153
	v_add_f32_e32 v43, v46, v43
	v_fmac_f32_e32 v50, 0xbf06c442, v18
	v_fma_f32 v46, v30, s17, -v59
	v_fmac_f32_e32 v72, 0x3f3d2fb0, v38
	v_mul_f32_e32 v154, 0xbeb8f4ab, v94
	v_add_f32_e32 v43, v50, v43
	v_add_f32_e32 v46, v0, v46
	v_fma_f32 v50, v31, s6, -v62
	v_add_f32_e32 v17, v72, v17
	v_mov_b32_e32 v72, v154
	v_fmac_f32_e32 v51, 0x3f2c7751, v19
	v_add_f32_e32 v46, v50, v46
	v_fma_f32 v50, v34, s16, -v63
	v_fmac_f32_e32 v72, 0x3f6eb680, v39
	v_mul_f32_e32 v155, 0xbf7ee86f, v95
	v_add_f32_e32 v43, v51, v43
	v_fmac_f32_e32 v54, 0xbf4c4adb, v22
	v_add_f32_e32 v46, v50, v46
	v_fma_f32 v50, v35, s7, -v74
	v_add_f32_e32 v17, v72, v17
	v_mov_b32_e32 v72, v155
	v_add_f32_e32 v43, v54, v43
	v_fmac_f32_e32 v55, 0x3f65296c, v23
	v_add_f32_e32 v46, v50, v46
	v_fma_f32 v50, v38, s15, -v75
	v_fmac_f32_e32 v72, 0x3dbcf732, v42
	v_mul_f32_e32 v156, 0xbf59a7d5, v81
	v_add_f32_e32 v43, v55, v43
	v_fmac_f32_e32 v58, 0xbf763a35, v26
	v_add_f32_e32 v46, v50, v46
	v_fma_f32 v50, v39, s8, -v80
	v_add_f32_e32 v72, v72, v17
	v_mov_b32_e32 v17, v156
	v_add_f32_e32 v43, v58, v43
	v_add_f32_e32 v46, v50, v46
	v_fma_f32 v50, v42, s14, -v61
	v_fmac_f32_e32 v47, 0x3f7ee86f, v27
	v_fmac_f32_e32 v17, 0x3f06c442, v27
	v_mul_f32_e32 v157, 0xbf06c442, v100
	v_add_f32_e32 v46, v50, v46
	v_add_f32_e32 v47, v47, v43
	v_fma_f32 v43, v60, s9, -v96
	v_fmac_f32_e32 v56, 0xbf06c442, v14
	v_add_f32_e32 v17, v17, v16
	v_mov_b32_e32 v16, v157
	v_add_f32_e32 v46, v43, v46
	v_add_f32_e32 v43, v1, v56
	v_fmac_f32_e32 v57, 0x3f65296c, v15
	v_fma_f32 v49, v30, s16, -v49
	v_fmac_f32_e32 v16, 0xbf59a7d5, v60
	v_mul_f32_e32 v158, 0x3f3d2fb0, v82
	v_add_f32_e32 v43, v57, v43
	v_fmac_f32_e32 v97, 0xbf7ee86f, v18
	v_add_f32_e32 v49, v0, v49
	v_fma_f32 v50, v31, s8, -v101
	v_add_f32_e32 v16, v16, v72
	v_mov_b32_e32 v72, v158
	v_mul_f32_e32 v159, 0x3dbcf732, v83
	v_add_f32_e32 v43, v97, v43
	v_fmac_f32_e32 v52, 0x3f4c4adb, v19
	v_add_f32_e32 v49, v50, v49
	v_fma_f32 v44, v34, s9, -v44
	v_add_f32_e32 v5, v5, v73
	v_fmac_f32_e32 v72, 0x3f2c7751, v14
	v_mov_b32_e32 v73, v159
	v_add_f32_e32 v43, v52, v43
	v_fmac_f32_e32 v53, 0xbeb8f4ab, v22
	v_add_f32_e32 v44, v44, v49
	v_fma_f32 v45, v35, s15, -v45
	v_add_f32_e32 v72, v1, v72
	v_fmac_f32_e32 v73, 0x3f7ee86f, v15
	v_mul_f32_e32 v160, 0xbf1a4643, v84
	v_add_f32_e32 v43, v53, v43
	v_fmac_f32_e32 v98, 0xbe3c28d5, v23
	v_add_f32_e32 v44, v45, v44
	v_fma_f32 v45, v38, s6, -v102
	v_add_f32_e32 v72, v73, v72
	v_mov_b32_e32 v73, v160
	v_add_f32_e32 v43, v98, v43
	v_fmac_f32_e32 v99, 0x3f2c7751, v26
	v_add_f32_e32 v44, v45, v44
	v_fma_f32 v40, v39, s17, -v40
	v_fmac_f32_e32 v73, 0x3f4c4adb, v18
	v_mul_f32_e32 v161, 0xbf7ba420, v85
	v_add_f32_e32 v43, v99, v43
	v_add_f32_e32 v40, v40, v44
	v_fma_f32 v41, v42, s7, -v41
	v_fmac_f32_e32 v48, 0xbf763a35, v27
	v_add_f32_e32 v72, v73, v72
	v_mov_b32_e32 v73, v161
	v_add_f32_e32 v40, v41, v40
	v_add_f32_e32 v41, v48, v43
	v_fma_f32 v43, v60, s14, -v103
	v_fmac_f32_e32 v104, 0xbf4c4adb, v14
	v_fmac_f32_e32 v73, 0x3e3c28d5, v19
	v_mul_f32_e32 v162, 0xbf59a7d5, v86
	v_add_f32_e32 v40, v43, v40
	v_add_f32_e32 v43, v1, v104
	v_fmac_f32_e32 v36, 0x3f763a35, v15
	v_fma_f32 v33, v30, s15, -v33
	v_add_f32_e32 v72, v73, v72
	v_mov_b32_e32 v73, v162
	v_add_f32_e32 v36, v36, v43
	v_fmac_f32_e32 v37, 0xbeb8f4ab, v18
	v_add_f32_e32 v33, v0, v33
	v_fma_f32 v25, v31, s14, -v25
	v_fmac_f32_e32 v73, 0xbf06c442, v22
	v_mul_f32_e32 v163, 0xbe8c1d8e, v87
	v_add_f32_e32 v36, v37, v36
	v_fmac_f32_e32 v105, 0xbf06c442, v19
	v_add_f32_e32 v25, v25, v33
	v_fma_f32 v33, v34, s6, -v108
	v_add_f32_e32 v72, v73, v72
	v_mov_b32_e32 v73, v163
	v_add_f32_e32 v36, v105, v36
	v_fmac_f32_e32 v106, 0x3f7ee86f, v22
	v_add_f32_e32 v25, v33, v25
	v_fma_f32 v33, v35, s16, -v109
	v_fmac_f32_e32 v73, 0xbf763a35, v23
	v_mul_f32_e32 v164, 0x3ee437d1, v88
	v_add_f32_e32 v36, v106, v36
	v_fmac_f32_e32 v32, 0xbf2c7751, v23
	v_add_f32_e32 v25, v33, v25
	v_fma_f32 v28, v38, s9, -v28
	v_fmac_f32_e32 v20, 0xbf763a35, v14
	v_add_f32_e32 v72, v73, v72
	v_mov_b32_e32 v73, v164
	v_add_f32_e32 v32, v32, v36
	v_fmac_f32_e32 v107, 0xbe3c28d5, v26
	v_add_f32_e32 v25, v28, v25
	v_fma_f32 v28, v39, s7, -v29
	v_add_f32_e32 v20, v1, v20
	v_fmac_f32_e32 v21, 0x3f06c442, v15
	v_fmac_f32_e32 v73, 0xbf65296c, v26
	v_mul_f32_e32 v165, 0xbf2c7751, v89
	v_add_f32_e32 v32, v107, v32
	v_add_f32_e32 v25, v28, v25
	v_fma_f32 v28, v42, s17, -v110
	v_fmac_f32_e32 v24, 0x3f65296c, v27
	v_add_f32_e32 v20, v21, v20
	v_fmac_f32_e32 v112, 0x3f2c7751, v18
	v_add_f32_e32 v72, v73, v72
	v_mov_b32_e32 v73, v165
	v_mul_f32_e32 v166, 0xbf7ee86f, v90
	v_add_f32_e32 v28, v28, v25
	v_add_f32_e32 v25, v24, v32
	v_fma_f32 v24, v60, s8, -v111
	v_add_f32_e32 v20, v112, v20
	v_fmac_f32_e32 v113, 0xbf65296c, v19
	v_fma_f32 v21, v30, s14, -v118
	v_fmac_f32_e32 v73, 0x3f3d2fb0, v30
	v_mov_b32_e32 v167, v166
	v_add_f32_e32 v24, v24, v28
	v_add_f32_e32 v20, v113, v20
	v_fmac_f32_e32 v115, 0xbe3c28d5, v22
	v_add_f32_e32 v21, v0, v21
	v_fma_f32 v28, v31, s16, -v119
	v_add_f32_e32 v73, v0, v73
	v_fmac_f32_e32 v167, 0x3dbcf732, v31
	v_add_f32_e32 v20, v115, v20
	v_fmac_f32_e32 v116, 0x3f7ee86f, v23
	v_add_f32_e32 v21, v28, v21
	v_fma_f32 v28, v34, s7, -v121
	v_add_f32_e32 v73, v167, v73
	v_mul_f32_e32 v167, 0xbf4c4adb, v91
	v_add_f32_e32 v20, v116, v20
	v_fmac_f32_e32 v117, 0xbeb8f4ab, v26
	v_add_f32_e32 v21, v28, v21
	v_fma_f32 v28, v35, s8, -v122
	v_mov_b32_e32 v168, v167
	v_add_f32_e32 v20, v117, v20
	v_add_f32_e32 v21, v28, v21
	v_fma_f32 v28, v38, s17, -v123
	v_fmac_f32_e32 v120, 0xbf4c4adb, v27
	v_fmac_f32_e32 v168, 0xbf1a4643, v34
	v_add_f32_e32 v28, v28, v21
	v_add_f32_e32 v21, v120, v20
	v_fma_f32 v20, v39, s9, -v114
	v_add_f32_e32 v73, v168, v73
	v_mul_f32_e32 v168, 0xbe3c28d5, v92
	v_add_f32_e32 v20, v20, v28
	v_fma_f32 v28, v42, s6, -v124
	v_mov_b32_e32 v169, v168
	v_add_f32_e32 v20, v28, v20
	v_fma_f32 v28, v60, s15, -v125
	v_fmac_f32_e32 v126, 0xbf7ee86f, v14
	v_fmac_f32_e32 v169, 0xbf7ba420, v35
	v_add_f32_e32 v20, v28, v20
	v_add_f32_e32 v28, v1, v126
	v_fmac_f32_e32 v127, 0xbe3c28d5, v15
	v_add_f32_e32 v73, v169, v73
	v_mul_f32_e32 v169, 0x3f06c442, v93
	v_add_f32_e32 v28, v127, v28
	v_fmac_f32_e32 v128, 0x3f763a35, v18
	v_mov_b32_e32 v170, v169
	v_add_f32_e32 v28, v128, v28
	v_fmac_f32_e32 v129, 0x3eb8f4ab, v19
	v_fmac_f32_e32 v170, 0xbf59a7d5, v38
	v_add_f32_e32 v28, v129, v28
	v_fmac_f32_e32 v130, 0xbf65296c, v22
	v_add_f32_e32 v73, v170, v73
	v_mul_f32_e32 v170, 0x3f763a35, v94
	v_add_f32_e32 v28, v130, v28
	v_fmac_f32_e32 v131, 0xbf06c442, v23
	v_mov_b32_e32 v171, v170
	v_add_f32_e32 v28, v131, v28
	v_fmac_f32_e32 v132, 0x3f4c4adb, v26
	v_fmac_f32_e32 v171, 0xbe8c1d8e, v39
	v_add_f32_e32 v28, v132, v28
	v_fmac_f32_e32 v140, 0x3f2c7751, v27
	v_add_f32_e32 v73, v171, v73
	v_mul_f32_e32 v171, 0x3f65296c, v95
	v_add_f32_e32 v29, v140, v28
	v_fma_f32 v28, v30, s9, -v133
	v_mov_b32_e32 v172, v171
	v_add_f32_e32 v28, v0, v28
	v_fma_f32 v32, v31, s17, -v134
	v_fmac_f32_e32 v172, 0x3ee437d1, v42
	v_mul_f32_e32 v173, 0x3f6eb680, v81
	v_add_f32_e32 v28, v32, v28
	v_fma_f32 v32, v34, s14, -v135
	v_add_f32_e32 v172, v172, v73
	v_mov_b32_e32 v73, v173
	v_add_f32_e32 v28, v32, v28
	v_fma_f32 v32, v35, s6, -v136
	v_fmac_f32_e32 v73, 0xbeb8f4ab, v27
	v_mul_f32_e32 v174, 0x3eb8f4ab, v100
	v_add_f32_e32 v28, v32, v28
	v_fma_f32 v32, v38, s8, -v137
	v_add_f32_e32 v73, v73, v72
	v_mov_b32_e32 v72, v174
	v_add_f32_e32 v28, v32, v28
	v_fma_f32 v32, v39, s16, -v138
	v_fmac_f32_e32 v72, 0x3f6eb680, v60
	v_add_f32_e32 v28, v32, v28
	v_fma_f32 v32, v42, s15, -v139
	v_add_f32_e32 v72, v72, v172
	v_mul_f32_e32 v172, 0x3f6eb680, v82
	v_add_f32_e32 v28, v32, v28
	v_fma_f32 v32, v60, s7, -v141
	v_fmac_f32_e32 v142, 0xbf65296c, v14
	v_mov_b32_e32 v82, v172
	v_mul_f32_e32 v83, 0x3f3d2fb0, v83
	v_add_f32_e32 v28, v32, v28
	v_add_f32_e32 v32, v1, v142
	v_fmac_f32_e32 v143, 0xbf4c4adb, v15
	v_fmac_f32_e32 v82, 0x3eb8f4ab, v14
	v_mov_b32_e32 v175, v83
	v_add_f32_e32 v32, v143, v32
	v_fmac_f32_e32 v144, 0x3e3c28d5, v18
	v_add_f32_e32 v82, v1, v82
	v_fmac_f32_e32 v175, 0x3f2c7751, v15
	v_mul_f32_e32 v84, 0x3ee437d1, v84
	v_add_f32_e32 v32, v144, v32
	v_fmac_f32_e32 v145, 0x3f763a35, v19
	v_add_f32_e32 v82, v175, v82
	v_mov_b32_e32 v175, v84
	v_add_f32_e32 v32, v145, v32
	v_fmac_f32_e32 v146, 0x3f2c7751, v22
	v_fmac_f32_e32 v175, 0x3f65296c, v18
	v_mul_f32_e32 v85, 0x3dbcf732, v85
	v_add_f32_e32 v32, v146, v32
	v_fmac_f32_e32 v147, 0xbeb8f4ab, v23
	v_add_f32_e32 v82, v175, v82
	v_mov_b32_e32 v175, v85
	v_add_f32_e32 v32, v147, v32
	v_fmac_f32_e32 v148, 0xbf7ee86f, v26
	v_fmac_f32_e32 v175, 0x3f7ee86f, v19
	v_mul_f32_e32 v86, 0xbe8c1d8e, v86
	v_add_f32_e32 v32, v148, v32
	v_fmac_f32_e32 v156, 0xbf06c442, v27
	v_add_f32_e32 v82, v175, v82
	v_mov_b32_e32 v175, v86
	v_add_f32_e32 v33, v156, v32
	v_fma_f32 v32, v30, s8, -v149
	v_fmac_f32_e32 v175, 0x3f763a35, v22
	v_mul_f32_e32 v87, 0xbf1a4643, v87
	v_add_f32_e32 v32, v0, v32
	v_fma_f32 v36, v31, s15, -v150
	v_add_f32_e32 v82, v175, v82
	v_mov_b32_e32 v175, v87
	v_add_f32_e32 v32, v36, v32
	v_fma_f32 v36, v34, s17, -v151
	v_fmac_f32_e32 v175, 0x3f4c4adb, v23
	v_mul_f32_e32 v88, 0xbf59a7d5, v88
	v_add_f32_e32 v32, v36, v32
	v_fma_f32 v36, v35, s14, -v152
	;; [unrolled: 8-line block ×3, first 2 shown]
	v_add_f32_e32 v82, v175, v82
	v_mov_b32_e32 v175, v89
	v_mul_f32_e32 v90, 0xbf2c7751, v90
	v_add_f32_e32 v32, v36, v32
	v_fma_f32 v36, v42, s9, -v155
	v_fmac_f32_e32 v175, 0x3f6eb680, v30
	v_mov_b32_e32 v176, v90
	v_add_f32_e32 v32, v36, v32
	v_fma_f32 v36, v60, s16, -v157
	v_fmac_f32_e32 v158, 0xbf2c7751, v14
	v_add_f32_e32 v175, v0, v175
	v_fmac_f32_e32 v176, 0x3f3d2fb0, v31
	v_mul_f32_e32 v91, 0xbf65296c, v91
	v_add_f32_e32 v32, v36, v32
	v_add_f32_e32 v36, v1, v158
	v_fmac_f32_e32 v159, 0xbf7ee86f, v15
	v_add_f32_e32 v175, v176, v175
	v_mov_b32_e32 v176, v91
	v_add_f32_e32 v36, v159, v36
	v_fmac_f32_e32 v160, 0xbf4c4adb, v18
	v_fmac_f32_e32 v176, 0x3ee437d1, v34
	v_mul_f32_e32 v92, 0xbf7ee86f, v92
	v_add_f32_e32 v36, v160, v36
	v_fmac_f32_e32 v161, 0xbe3c28d5, v19
	v_add_f32_e32 v175, v176, v175
	v_mov_b32_e32 v176, v92
	v_add_f32_e32 v36, v161, v36
	v_fmac_f32_e32 v162, 0x3f06c442, v22
	v_fmac_f32_e32 v176, 0x3dbcf732, v35
	v_mul_f32_e32 v93, 0xbf763a35, v93
	;; [unrolled: 8-line block ×3, first 2 shown]
	v_add_f32_e32 v36, v164, v36
	v_fmac_f32_e32 v173, 0x3eb8f4ab, v27
	v_add_f32_e32 v175, v176, v175
	v_mov_b32_e32 v176, v94
	v_add_f32_e32 v37, v173, v36
	v_fma_f32 v36, v30, s7, -v165
	v_fmac_f32_e32 v172, 0xbeb8f4ab, v14
	v_fma_f32 v14, v30, s6, -v89
	v_fmac_f32_e32 v176, 0xbf1a4643, v39
	v_mul_f32_e32 v95, 0xbf06c442, v95
	v_add_f32_e32 v36, v0, v36
	v_add_f32_e32 v0, v0, v14
	v_fma_f32 v14, v31, s7, -v90
	v_add_f32_e32 v175, v176, v175
	v_mov_b32_e32 v176, v95
	v_add_f32_e32 v0, v14, v0
	v_fma_f32 v14, v34, s8, -v91
	v_fmac_f32_e32 v176, 0xbf59a7d5, v42
	v_fma_f32 v43, v31, s9, -v166
	v_add_f32_e32 v1, v1, v172
	v_fmac_f32_e32 v83, 0xbf2c7751, v15
	v_add_f32_e32 v0, v14, v0
	v_fma_f32 v14, v35, s9, -v92
	v_add_f32_e32 v175, v176, v175
	v_mul_f32_e32 v176, 0xbf7ba420, v81
	v_add_f32_e32 v36, v43, v36
	v_fma_f32 v43, v34, s15, -v167
	v_add_f32_e32 v1, v83, v1
	v_fmac_f32_e32 v84, 0xbf65296c, v18
	v_add_f32_e32 v0, v14, v0
	v_fma_f32 v14, v38, s14, -v93
	v_mov_b32_e32 v81, v176
	v_add_f32_e32 v36, v43, v36
	v_fma_f32 v43, v35, s17, -v168
	v_add_f32_e32 v1, v84, v1
	v_fmac_f32_e32 v85, 0xbf7ee86f, v19
	v_add_f32_e32 v0, v14, v0
	v_fma_f32 v14, v39, s15, -v94
	v_fmac_f32_e32 v81, 0x3e3c28d5, v27
	v_mul_f32_e32 v100, 0xbe3c28d5, v100
	v_add_f32_e32 v36, v43, v36
	v_fma_f32 v43, v38, s16, -v169
	v_add_f32_e32 v1, v85, v1
	v_fmac_f32_e32 v86, 0xbf763a35, v22
	v_add_f32_e32 v0, v14, v0
	v_fma_f32 v14, v42, s16, -v95
	v_add_f32_e32 v82, v81, v82
	v_mov_b32_e32 v81, v100
	v_add_f32_e32 v36, v43, v36
	v_fma_f32 v43, v39, s14, -v170
	v_add_f32_e32 v1, v86, v1
	v_fmac_f32_e32 v87, 0xbf4c4adb, v23
	v_add_f32_e32 v0, v14, v0
	v_fma_f32 v14, v60, s17, -v100
	v_fmac_f32_e32 v81, 0xbf7ba420, v60
	v_add_f32_e32 v36, v43, v36
	v_fma_f32 v43, v42, s8, -v171
	v_add_f32_e32 v1, v87, v1
	v_fmac_f32_e32 v88, 0xbf06c442, v26
	v_add_f32_e32 v0, v14, v0
	v_mul_i32_i24_e32 v14, 0x88, v68
	v_add_f32_e32 v81, v81, v175
	v_add_f32_e32 v36, v43, v36
	v_fma_f32 v43, v60, s6, -v174
	v_add_f32_e32 v1, v88, v1
	v_fmac_f32_e32 v176, 0xbe3c28d5, v27
	v_add3_u32 v14, 0, v14, v79
	v_add_f32_e32 v36, v43, v36
	v_add_f32_e32 v1, v176, v1
	ds_write2_b64 v14, v[4:5], v[81:82] offset1:1
	ds_write2_b64 v14, v[72:73], v[16:17] offset0:2 offset1:3
	ds_write2_b64 v14, v[12:13], v[8:9] offset0:4 offset1:5
	;; [unrolled: 1-line block ×7, first 2 shown]
	ds_write_b64 v14, v[0:1] offset:128
.LBB0_14:
	s_or_b64 exec, exec, s[4:5]
	v_lshlrev_b32_e32 v0, 1, v66
	v_mov_b32_e32 v1, 0
	v_lshlrev_b64 v[4:5], 3, v[0:1]
	v_mov_b32_e32 v3, s13
	v_add_co_u32_e64 v4, s[0:1], s12, v4
	v_addc_co_u32_e64 v5, s[0:1], v3, v5, s[0:1]
	v_add_u16_e32 v0, 34, v66
	s_movk_i32 s0, 0xf1
	v_mul_lo_u16_sdwa v8, v0, s0 dst_sel:DWORD dst_unused:UNUSED_PAD src0_sel:BYTE_0 src1_sel:DWORD
	v_lshrrev_b16_e32 v8, 12, v8
	v_add_u16_e32 v12, 51, v66
	v_mul_lo_u16_e32 v8, 17, v8
	v_mul_lo_u16_sdwa v13, v12, s0 dst_sel:DWORD dst_unused:UNUSED_PAD src0_sel:BYTE_0 src1_sel:DWORD
	v_mov_b32_e32 v2, 4
	v_sub_u16_e32 v0, v0, v8
	v_lshrrev_b16_e32 v13, 12, v13
	v_add_u16_e32 v16, 0x44, v66
	s_waitcnt lgkmcnt(0)
	; wave barrier
	s_waitcnt lgkmcnt(0)
	global_load_dwordx4 v[4:7], v[4:5], off
	v_lshlrev_b32_sdwa v8, v2, v0 dst_sel:DWORD dst_unused:UNUSED_PAD src0_sel:DWORD src1_sel:BYTE_0
	v_mul_lo_u16_e32 v13, 17, v13
	v_mul_lo_u16_sdwa v17, v16, s0 dst_sel:DWORD dst_unused:UNUSED_PAD src0_sel:BYTE_0 src1_sel:DWORD
	global_load_dwordx4 v[8:11], v8, s[12:13]
	v_sub_u16_e32 v92, v12, v13
	v_lshrrev_b16_e32 v17, 12, v17
	v_add_u16_e32 v20, 0x55, v66
	v_lshlrev_b32_sdwa v12, v2, v92 dst_sel:DWORD dst_unused:UNUSED_PAD src0_sel:DWORD src1_sel:BYTE_0
	v_mul_lo_u16_e32 v17, 17, v17
	v_mul_lo_u16_sdwa v21, v20, s0 dst_sel:DWORD dst_unused:UNUSED_PAD src0_sel:BYTE_0 src1_sel:DWORD
	global_load_dwordx4 v[12:15], v12, s[12:13]
	v_sub_u16_e32 v93, v16, v17
	v_lshrrev_b16_e32 v21, 12, v21
	v_add_u16_e32 v24, 0x66, v66
	v_lshlrev_b32_sdwa v16, v2, v93 dst_sel:DWORD dst_unused:UNUSED_PAD src0_sel:DWORD src1_sel:BYTE_0
	global_load_dwordx4 v[16:19], v16, s[12:13]
	v_mul_lo_u16_e32 v21, 17, v21
	v_mul_lo_u16_sdwa v25, v24, s0 dst_sel:DWORD dst_unused:UNUSED_PAD src0_sel:BYTE_0 src1_sel:DWORD
	v_sub_u16_e32 v94, v20, v21
	v_lshrrev_b16_e32 v25, 12, v25
	v_add_u16_e32 v28, 0x77, v66
	v_lshlrev_b32_sdwa v20, v2, v94 dst_sel:DWORD dst_unused:UNUSED_PAD src0_sel:DWORD src1_sel:BYTE_0
	v_mul_lo_u16_e32 v25, 17, v25
	v_mul_lo_u16_sdwa v29, v28, s0 dst_sel:DWORD dst_unused:UNUSED_PAD src0_sel:BYTE_0 src1_sel:DWORD
	global_load_dwordx4 v[20:23], v20, s[12:13]
	v_sub_u16_e32 v95, v24, v25
	v_lshrrev_b16_e32 v29, 12, v29
	v_lshlrev_b32_sdwa v24, v2, v95 dst_sel:DWORD dst_unused:UNUSED_PAD src0_sel:DWORD src1_sel:BYTE_0
	global_load_dwordx4 v[24:27], v24, s[12:13]
	v_mul_lo_u16_e32 v29, 17, v29
	v_sub_u16_e32 v96, v28, v29
	v_lshlrev_b32_sdwa v2, v2, v96 dst_sel:DWORD dst_unused:UNUSED_PAD src0_sel:DWORD src1_sel:BYTE_0
	global_load_dwordx4 v[28:31], v2, s[12:13]
	ds_read2_b64 v[32:35], v69 offset0:136 offset1:153
	ds_read2_b64 v[36:39], v78 offset0:16 offset1:33
	;; [unrolled: 1-line block ×11, first 2 shown]
	v_lshlrev_b32_e32 v2, 3, v68
	v_add3_u32 v2, 0, v2, v79
	ds_read_b64 v[88:89], v77
	ds_read_b64 v[90:91], v2
	s_waitcnt lgkmcnt(0)
	; wave barrier
	s_waitcnt vmcnt(6) lgkmcnt(0)
	v_mul_f32_e32 v97, v33, v5
	v_mul_f32_e32 v98, v32, v5
	;; [unrolled: 1-line block ×5, first 2 shown]
	v_fmac_f32_e32 v97, v32, v4
	v_fma_f32 v32, v33, v4, -v98
	v_fmac_f32_e32 v101, v34, v4
	v_fma_f32 v34, v35, v4, -v5
	s_waitcnt vmcnt(5)
	v_mul_f32_e32 v4, v44, v9
	v_mul_f32_e32 v99, v37, v7
	;; [unrolled: 1-line block ×4, first 2 shown]
	v_fma_f32 v33, v37, v6, -v100
	v_fma_f32 v37, v45, v8, -v4
	v_mul_f32_e32 v4, v48, v11
	v_fma_f32 v35, v39, v6, -v7
	v_fma_f32 v39, v49, v10, -v4
	s_waitcnt vmcnt(4)
	v_mul_f32_e32 v4, v46, v13
	v_fmac_f32_e32 v99, v36, v6
	v_mul_f32_e32 v36, v45, v9
	v_fma_f32 v45, v47, v12, -v4
	v_mul_f32_e32 v4, v50, v15
	v_fmac_f32_e32 v36, v44, v8
	v_mul_f32_e32 v44, v47, v13
	v_fma_f32 v47, v51, v14, -v4
	s_waitcnt vmcnt(3)
	v_mul_f32_e32 v4, v56, v17
	v_fmac_f32_e32 v102, v38, v6
	v_mul_f32_e32 v38, v49, v11
	v_fma_f32 v49, v57, v16, -v4
	v_mul_f32_e32 v4, v60, v19
	v_fmac_f32_e32 v44, v46, v12
	v_mul_f32_e32 v46, v51, v15
	;; [unrolled: 9-line block ×4, first 2 shown]
	v_fma_f32 v63, v85, v26, -v4
	s_waitcnt vmcnt(0)
	v_mul_f32_e32 v4, v82, v29
	v_fmac_f32_e32 v50, v60, v18
	v_mul_f32_e32 v60, v81, v25
	v_fma_f32 v81, v83, v28, -v4
	v_mul_f32_e32 v4, v86, v31
	v_add_f32_e32 v5, v97, v99
	v_fmac_f32_e32 v60, v80, v24
	v_mul_f32_e32 v80, v83, v29
	v_fma_f32 v83, v87, v30, -v4
	v_add_f32_e32 v4, v88, v97
	v_fma_f32 v88, -0.5, v5, v88
	v_sub_f32_e32 v5, v32, v33
	v_mov_b32_e32 v6, v88
	v_add_f32_e32 v7, v32, v33
	v_fmac_f32_e32 v6, 0xbf5db3d7, v5
	v_fmac_f32_e32 v88, 0x3f5db3d7, v5
	v_add_f32_e32 v5, v89, v32
	v_fmac_f32_e32 v89, -0.5, v7
	v_sub_f32_e32 v8, v97, v99
	v_mov_b32_e32 v7, v89
	v_add_f32_e32 v9, v101, v102
	v_fmac_f32_e32 v7, 0x3f5db3d7, v8
	v_fmac_f32_e32 v89, 0xbf5db3d7, v8
	v_add_f32_e32 v8, v90, v101
	v_fma_f32 v90, -0.5, v9, v90
	v_sub_f32_e32 v9, v34, v35
	v_mov_b32_e32 v10, v90
	v_add_f32_e32 v11, v34, v35
	v_add_f32_e32 v15, v37, v39
	v_fmac_f32_e32 v10, 0xbf5db3d7, v9
	v_fmac_f32_e32 v90, 0x3f5db3d7, v9
	v_add_f32_e32 v9, v91, v34
	v_fmac_f32_e32 v91, -0.5, v11
	v_add_f32_e32 v13, v36, v38
	v_fma_f32 v15, -0.5, v15, v41
	v_add_f32_e32 v4, v4, v99
	v_add_f32_e32 v5, v5, v33
	v_sub_f32_e32 v12, v101, v102
	v_mov_b32_e32 v11, v91
	v_fma_f32 v14, -0.5, v13, v40
	v_sub_f32_e32 v18, v36, v38
	v_mov_b32_e32 v17, v15
	v_add_f32_e32 v19, v44, v46
	v_add_f32_e32 v8, v8, v102
	;; [unrolled: 1-line block ×3, first 2 shown]
	v_fmac_f32_e32 v11, 0x3f5db3d7, v12
	v_fmac_f32_e32 v91, 0xbf5db3d7, v12
	v_sub_f32_e32 v13, v37, v39
	v_mov_b32_e32 v16, v14
	v_fmac_f32_e32 v17, 0x3f5db3d7, v18
	v_fmac_f32_e32 v15, 0xbf5db3d7, v18
	v_add_f32_e32 v18, v42, v44
	v_fma_f32 v42, -0.5, v19, v42
	ds_write2_b64 v69, v[4:5], v[6:7] offset1:17
	ds_write2_b64 v69, v[88:89], v[8:9] offset0:34 offset1:51
	ds_write2_b64 v69, v[10:11], v[90:91] offset0:68 offset1:85
	v_mov_b32_e32 v4, 3
	v_add_f32_e32 v12, v40, v36
	v_fmac_f32_e32 v16, 0xbf5db3d7, v13
	v_fmac_f32_e32 v14, 0x3f5db3d7, v13
	v_add_f32_e32 v13, v41, v37
	v_sub_f32_e32 v19, v45, v47
	v_mov_b32_e32 v20, v42
	v_add_f32_e32 v21, v45, v47
	v_lshlrev_b32_sdwa v0, v4, v0 dst_sel:DWORD dst_unused:UNUSED_PAD src0_sel:DWORD src1_sel:BYTE_0
	v_add_f32_e32 v12, v12, v38
	v_add_f32_e32 v13, v13, v39
	v_fmac_f32_e32 v20, 0xbf5db3d7, v19
	v_fmac_f32_e32 v42, 0x3f5db3d7, v19
	v_add_f32_e32 v19, v43, v45
	v_fmac_f32_e32 v43, -0.5, v21
	v_add_f32_e32 v23, v48, v50
	v_add_f32_e32 v25, v49, v51
	v_add3_u32 v0, 0, v0, v79
	v_fmac_f32_e32 v58, v62, v22
	v_mul_f32_e32 v62, v85, v27
	v_sub_f32_e32 v22, v44, v46
	v_mov_b32_e32 v21, v43
	v_fma_f32 v24, -0.5, v23, v52
	v_fma_f32 v25, -0.5, v25, v53
	ds_write2_b64 v0, v[12:13], v[16:17] offset0:102 offset1:119
	ds_write_b64 v0, v[14:15] offset:1088
	v_lshlrev_b32_sdwa v0, v4, v92 dst_sel:DWORD dst_unused:UNUSED_PAD src0_sel:DWORD src1_sel:BYTE_0
	v_fmac_f32_e32 v62, v84, v26
	v_fmac_f32_e32 v80, v82, v28
	v_add_f32_e32 v18, v18, v46
	v_add_f32_e32 v19, v19, v47
	v_fmac_f32_e32 v21, 0x3f5db3d7, v22
	v_sub_f32_e32 v23, v49, v51
	v_mov_b32_e32 v26, v24
	v_sub_f32_e32 v28, v48, v50
	v_mov_b32_e32 v27, v25
	v_add_f32_e32 v29, v56, v58
	v_add3_u32 v0, 0, v0, v79
	v_mul_f32_e32 v82, v87, v31
	v_fmac_f32_e32 v43, 0xbf5db3d7, v22
	v_add_f32_e32 v22, v52, v48
	v_fmac_f32_e32 v26, 0xbf5db3d7, v23
	v_fmac_f32_e32 v24, 0x3f5db3d7, v23
	v_add_f32_e32 v23, v53, v49
	v_fmac_f32_e32 v27, 0x3f5db3d7, v28
	v_fmac_f32_e32 v25, 0xbf5db3d7, v28
	v_add_f32_e32 v28, v54, v56
	v_fma_f32 v54, -0.5, v29, v54
	ds_write2_b64 v0, v[18:19], v[20:21] offset0:153 offset1:170
	ds_write_b64 v0, v[42:43] offset:1496
	v_lshlrev_b32_sdwa v0, v4, v93 dst_sel:DWORD dst_unused:UNUSED_PAD src0_sel:DWORD src1_sel:BYTE_0
	v_fmac_f32_e32 v82, v86, v30
	v_add_f32_e32 v22, v22, v50
	v_add_f32_e32 v23, v23, v51
	v_sub_f32_e32 v29, v57, v59
	v_mov_b32_e32 v30, v54
	v_add_f32_e32 v31, v57, v59
	v_add3_u32 v0, 0, v0, v79
	v_fmac_f32_e32 v30, 0xbf5db3d7, v29
	v_fmac_f32_e32 v54, 0x3f5db3d7, v29
	v_add_f32_e32 v29, v55, v57
	v_fmac_f32_e32 v55, -0.5, v31
	ds_write2_b64 v0, v[22:23], v[26:27] offset0:204 offset1:221
	ds_write_b64 v0, v[24:25] offset:1904
	v_lshlrev_b32_sdwa v0, v4, v94 dst_sel:DWORD dst_unused:UNUSED_PAD src0_sel:DWORD src1_sel:BYTE_0
	v_sub_f32_e32 v32, v56, v58
	v_mov_b32_e32 v31, v55
	v_add_f32_e32 v33, v60, v62
	v_add_f32_e32 v35, v61, v63
	v_add3_u32 v0, 0, v0, v79
	v_add_f32_e32 v28, v28, v58
	v_add_f32_e32 v29, v29, v59
	v_fmac_f32_e32 v31, 0x3f5db3d7, v32
	v_fma_f32 v34, -0.5, v33, v72
	v_fma_f32 v35, -0.5, v35, v73
	v_add_u32_e32 v5, 0x400, v0
	v_fmac_f32_e32 v55, 0xbf5db3d7, v32
	v_sub_f32_e32 v33, v61, v63
	v_mov_b32_e32 v36, v34
	v_sub_f32_e32 v38, v60, v62
	v_mov_b32_e32 v37, v35
	v_add_f32_e32 v39, v80, v82
	ds_write2_b64 v5, v[28:29], v[30:31] offset0:127 offset1:144
	ds_write_b64 v0, v[54:55] offset:2312
	v_lshlrev_b32_sdwa v0, v4, v95 dst_sel:DWORD dst_unused:UNUSED_PAD src0_sel:DWORD src1_sel:BYTE_0
	v_add_f32_e32 v32, v72, v60
	v_fmac_f32_e32 v36, 0xbf5db3d7, v33
	v_fmac_f32_e32 v34, 0x3f5db3d7, v33
	v_add_f32_e32 v33, v73, v61
	v_fmac_f32_e32 v37, 0x3f5db3d7, v38
	v_fmac_f32_e32 v35, 0xbf5db3d7, v38
	v_add_f32_e32 v38, v74, v80
	v_fma_f32 v74, -0.5, v39, v74
	v_add3_u32 v0, 0, v0, v79
	v_add_f32_e32 v32, v32, v62
	v_add_f32_e32 v33, v33, v63
	v_sub_f32_e32 v39, v81, v83
	v_mov_b32_e32 v40, v74
	v_add_f32_e32 v41, v81, v83
	v_add_u32_e32 v5, 0x800, v0
	v_fmac_f32_e32 v40, 0xbf5db3d7, v39
	v_fmac_f32_e32 v74, 0x3f5db3d7, v39
	v_add_f32_e32 v39, v75, v81
	v_fmac_f32_e32 v75, -0.5, v41
	ds_write2_b64 v5, v[32:33], v[36:37] offset0:50 offset1:67
	ds_write_b64 v0, v[34:35] offset:2720
	v_lshlrev_b32_sdwa v0, v4, v96 dst_sel:DWORD dst_unused:UNUSED_PAD src0_sel:DWORD src1_sel:BYTE_0
	v_sub_f32_e32 v44, v80, v82
	v_mov_b32_e32 v41, v75
	v_add3_u32 v0, 0, v0, v79
	v_add_f32_e32 v38, v38, v82
	v_add_f32_e32 v39, v39, v83
	v_fmac_f32_e32 v41, 0x3f5db3d7, v44
	v_add_u32_e32 v4, 0x800, v0
	v_fmac_f32_e32 v75, 0xbf5db3d7, v44
	ds_write2_b64 v4, v[38:39], v[40:41] offset0:101 offset1:118
	ds_write_b64 v0, v[74:75] offset:3128
	v_mul_u32_u24_e32 v0, 7, v66
	v_lshlrev_b32_e32 v60, 3, v0
	v_mul_i32_i24_e32 v0, 7, v68
	v_lshlrev_b64 v[16:17], 3, v[0:1]
	s_waitcnt lgkmcnt(0)
	; wave barrier
	s_waitcnt lgkmcnt(0)
	global_load_dwordx4 v[4:7], v60, s[12:13] offset:272
	global_load_dwordx4 v[8:11], v60, s[12:13] offset:288
	;; [unrolled: 1-line block ×3, first 2 shown]
	global_load_dwordx2 v[91:92], v60, s[12:13] offset:320
	v_add_co_u32_e64 v36, s[0:1], s12, v16
	v_addc_co_u32_e64 v37, s[0:1], v3, v17, s[0:1]
	global_load_dwordx4 v[16:19], v[36:37], off offset:272
	global_load_dwordx4 v[20:23], v[36:37], off offset:288
	;; [unrolled: 1-line block ×3, first 2 shown]
	global_load_dwordx2 v[93:94], v[36:37], off offset:320
	global_load_dwordx4 v[28:31], v60, s[12:13] offset:2176
	global_load_dwordx4 v[32:35], v60, s[12:13] offset:2192
	v_add_u32_e32 v0, 0x400, v69
	ds_read_b64 v[95:96], v77
	ds_read2_b64 v[36:39], v69 offset0:34 offset1:51
	ds_read2_b64 v[40:43], v69 offset0:102 offset1:119
	;; [unrolled: 1-line block ×3, first 2 shown]
	ds_read2_b32 v[97:98], v0 offset0:152 offset1:153
	ds_read2_b64 v[48:51], v0 offset0:127 offset1:144
	ds_read2_b64 v[52:55], v78 offset0:33 offset1:50
	global_load_dwordx2 v[99:100], v60, s[12:13] offset:2224
	global_load_dwordx4 v[56:59], v60, s[12:13] offset:2208
	ds_read2_b64 v[60:63], v78 offset0:101 offset1:118
	ds_read2_b64 v[72:75], v69 offset0:68 offset1:85
	;; [unrolled: 1-line block ×5, first 2 shown]
	ds_read_b64 v[101:102], v2
	ds_read_b64 v[103:104], v69 offset:3128
	s_waitcnt lgkmcnt(0)
	; wave barrier
	s_waitcnt lgkmcnt(0)
	v_cmp_ne_u32_e64 s[0:1], 0, v66
	s_waitcnt vmcnt(11)
	v_mul_f32_e32 v0, v5, v39
	v_fmac_f32_e32 v0, v4, v38
	v_mul_f32_e32 v3, v5, v38
	s_waitcnt vmcnt(7)
	v_mul_f32_e32 v38, v73, v17
	v_mul_f32_e32 v17, v72, v17
	v_fma_f32 v3, v4, v39, -v3
	v_mul_f32_e32 v4, v7, v41
	v_mul_f32_e32 v5, v7, v40
	v_fmac_f32_e32 v38, v72, v16
	v_fma_f32 v39, v73, v16, -v17
	v_mul_f32_e32 v16, v42, v19
	v_fmac_f32_e32 v4, v6, v40
	v_fma_f32 v5, v6, v41, -v5
	v_mul_f32_e32 v40, v43, v19
	v_fma_f32 v19, v43, v18, -v16
	s_waitcnt vmcnt(6)
	v_mul_f32_e32 v41, v80, v21
	v_mul_f32_e32 v16, v79, v21
	v_fmac_f32_e32 v41, v79, v20
	v_fma_f32 v20, v80, v20, -v16
	v_mul_f32_e32 v21, v84, v23
	v_mul_f32_e32 v16, v83, v23
	v_fmac_f32_e32 v21, v83, v22
	v_fma_f32 v22, v84, v22, -v16
	s_waitcnt vmcnt(5)
	v_mul_f32_e32 v23, v51, v25
	v_mul_f32_e32 v16, v50, v25
	v_fmac_f32_e32 v23, v50, v24
	v_fma_f32 v24, v51, v24, -v16
	v_mul_f32_e32 v25, v88, v27
	v_mul_f32_e32 v16, v87, v27
	v_fmac_f32_e32 v25, v87, v26
	v_fma_f32 v26, v88, v26, -v16
	s_waitcnt vmcnt(4)
	v_mul_f32_e32 v16, v62, v94
	v_mul_f32_e32 v6, v9, v47
	;; [unrolled: 1-line block ×3, first 2 shown]
	v_fmac_f32_e32 v40, v42, v18
	v_fma_f32 v42, v63, v93, -v16
	s_waitcnt vmcnt(3)
	v_mul_f32_e32 v16, v74, v29
	v_fmac_f32_e32 v6, v8, v46
	v_fma_f32 v7, v8, v47, -v7
	v_mul_f32_e32 v8, v98, v11
	v_mul_f32_e32 v9, v11, v97
	v_fma_f32 v46, v75, v28, -v16
	v_mul_f32_e32 v47, v45, v31
	v_mul_f32_e32 v16, v44, v31
	v_fmac_f32_e32 v8, v10, v97
	v_fma_f32 v9, v98, v10, -v9
	v_mul_f32_e32 v10, v49, v13
	v_fmac_f32_e32 v47, v44, v30
	v_fma_f32 v44, v45, v30, -v16
	s_waitcnt vmcnt(2)
	v_mul_f32_e32 v16, v81, v33
	v_fmac_f32_e32 v10, v48, v12
	v_mul_f32_e32 v11, v48, v13
	v_fma_f32 v48, v82, v32, -v16
	v_mul_f32_e32 v16, v85, v35
	v_fma_f32 v11, v49, v12, -v11
	v_mul_f32_e32 v12, v55, v15
	v_mul_f32_e32 v13, v54, v15
	;; [unrolled: 1-line block ×4, first 2 shown]
	v_fma_f32 v35, v86, v34, -v16
	s_waitcnt vmcnt(0)
	v_mul_f32_e32 v16, v52, v57
	v_fmac_f32_e32 v12, v54, v14
	v_fma_f32 v13, v55, v14, -v13
	v_fma_f32 v15, v61, v91, -v15
	;; [unrolled: 1-line block ×3, first 2 shown]
	v_mul_f32_e32 v16, v89, v59
	v_mul_f32_e32 v50, v53, v57
	v_fma_f32 v53, v90, v58, -v16
	v_mul_f32_e32 v16, v103, v100
	v_sub_f32_e32 v8, v95, v8
	v_sub_f32_e32 v9, v96, v9
	;; [unrolled: 1-line block ×6, first 2 shown]
	v_mul_f32_e32 v14, v61, v92
	v_mul_f32_e32 v43, v75, v29
	v_fma_f32 v55, v104, v99, -v16
	v_fma_f32 v16, v95, 2.0, -v8
	v_fma_f32 v17, v96, 2.0, -v9
	;; [unrolled: 1-line block ×6, first 2 shown]
	v_fmac_f32_e32 v14, v60, v91
	v_fmac_f32_e32 v43, v74, v28
	v_sub_f32_e32 v18, v16, v4
	v_sub_f32_e32 v28, v17, v5
	;; [unrolled: 1-line block ×3, first 2 shown]
	v_mul_f32_e32 v45, v82, v33
	v_sub_f32_e32 v10, v0, v10
	v_sub_f32_e32 v14, v6, v14
	v_fma_f32 v5, v16, 2.0, -v18
	v_fma_f32 v16, v17, 2.0, -v28
	v_add_f32_e32 v17, v8, v13
	v_fma_f32 v4, v3, 2.0, -v31
	v_fmac_f32_e32 v45, v81, v32
	v_fma_f32 v0, v0, 2.0, -v10
	v_fma_f32 v6, v6, 2.0, -v14
	v_sub_f32_e32 v29, v9, v12
	v_fma_f32 v12, v8, 2.0, -v17
	v_add_f32_e32 v32, v10, v15
	v_sub_f32_e32 v4, v16, v4
	v_fma_f32 v13, v9, 2.0, -v29
	v_sub_f32_e32 v30, v0, v6
	v_sub_f32_e32 v33, v11, v14
	v_fma_f32 v9, v10, 2.0, -v32
	v_fma_f32 v6, v16, 2.0, -v4
	v_mov_b32_e32 v7, v12
	v_mov_b32_e32 v16, v29
	v_mul_f32_e32 v27, v63, v94
	v_fma_f32 v10, v11, 2.0, -v33
	v_fmac_f32_e32 v7, 0xbf3504f3, v9
	v_mov_b32_e32 v8, v13
	v_mov_b32_e32 v15, v17
	v_fmac_f32_e32 v16, 0x3f3504f3, v33
	v_fmac_f32_e32 v27, v62, v93
	v_fma_f32 v0, v0, 2.0, -v30
	v_fmac_f32_e32 v8, 0xbf3504f3, v10
	v_fmac_f32_e32 v7, 0x3f3504f3, v10
	;; [unrolled: 1-line block ×4, first 2 shown]
	v_sub_f32_e32 v24, v39, v24
	v_sub_f32_e32 v32, v20, v42
	;; [unrolled: 1-line block ×3, first 2 shown]
	v_fmac_f32_e32 v8, 0xbf3504f3, v9
	v_fma_f32 v9, v12, 2.0, -v7
	v_add_f32_e32 v11, v18, v31
	v_sub_f32_e32 v12, v28, v30
	v_sub_f32_e32 v0, v101, v21
	;; [unrolled: 1-line block ×6, first 2 shown]
	v_fma_f32 v31, v39, 2.0, -v24
	v_sub_f32_e32 v27, v41, v27
	v_fma_f32 v20, v20, 2.0, -v32
	v_fma_f32 v10, v13, 2.0, -v8
	;; [unrolled: 1-line block ×4, first 2 shown]
	v_fmac_f32_e32 v15, 0x3f3504f3, v33
	v_fma_f32 v18, v29, 2.0, -v16
	v_fma_f32 v22, v101, 2.0, -v0
	;; [unrolled: 1-line block ×7, first 2 shown]
	v_add_f32_e32 v38, v0, v26
	v_sub_f32_e32 v40, v31, v20
	v_fmac_f32_e32 v49, v85, v34
	v_sub_f32_e32 v29, v22, v29
	v_sub_f32_e32 v34, v28, v19
	;; [unrolled: 1-line block ×3, first 2 shown]
	v_fma_f32 v0, v0, 2.0, -v38
	v_sub_f32_e32 v33, v30, v33
	v_fma_f32 v20, v31, 2.0, -v40
	v_add_f32_e32 v41, v23, v32
	v_mov_b32_e32 v31, v38
	v_fmac_f32_e32 v50, v52, v56
	v_mul_f32_e32 v52, v90, v59
	v_fma_f32 v22, v22, 2.0, -v29
	v_fma_f32 v28, v28, 2.0, -v34
	;; [unrolled: 1-line block ×4, first 2 shown]
	v_sub_f32_e32 v42, v24, v27
	v_fma_f32 v25, v23, 2.0, -v41
	v_mov_b32_e32 v23, v0
	v_fmac_f32_e32 v31, 0x3f3504f3, v41
	v_fmac_f32_e32 v52, v89, v58
	v_mul_f32_e32 v54, v104, v100
	v_fma_f32 v27, v24, 2.0, -v42
	v_sub_f32_e32 v19, v22, v19
	v_sub_f32_e32 v20, v28, v20
	v_fmac_f32_e32 v23, 0xbf3504f3, v25
	v_mov_b32_e32 v24, v26
	v_mov_b32_e32 v32, v39
	v_fmac_f32_e32 v31, 0x3f3504f3, v42
	v_fmac_f32_e32 v54, v103, v99
	v_fma_f32 v21, v22, 2.0, -v19
	v_fma_f32 v22, v28, 2.0, -v20
	v_fmac_f32_e32 v24, 0xbf3504f3, v27
	v_fmac_f32_e32 v23, 0x3f3504f3, v27
	v_sub_f32_e32 v28, v34, v33
	v_fmac_f32_e32 v32, 0x3f3504f3, v42
	v_fma_f32 v33, v38, 2.0, -v31
	v_sub_f32_e32 v38, v47, v52
	v_fmac_f32_e32 v24, 0xbf3504f3, v25
	v_fma_f32 v25, v0, 2.0, -v23
	v_add_f32_e32 v27, v29, v40
	v_fmac_f32_e32 v32, 0xbf3504f3, v41
	v_sub_f32_e32 v0, v36, v49
	v_fma_f32 v40, v47, 2.0, -v38
	v_sub_f32_e32 v42, v43, v50
	v_sub_f32_e32 v47, v45, v54
	v_fma_f32 v30, v34, 2.0, -v28
	v_fma_f32 v34, v39, 2.0, -v32
	v_sub_f32_e32 v35, v37, v35
	v_fma_f32 v36, v36, 2.0, -v0
	v_sub_f32_e32 v39, v44, v53
	v_fma_f32 v43, v43, 2.0, -v42
	v_fma_f32 v45, v45, 2.0, -v47
	v_sub_f32_e32 v49, v48, v55
	v_sub_f32_e32 v50, v36, v40
	v_add_f32_e32 v52, v0, v39
	v_sub_f32_e32 v53, v35, v38
	v_sub_f32_e32 v45, v43, v45
	v_fma_f32 v37, v37, 2.0, -v35
	v_fma_f32 v41, v44, 2.0, -v39
	v_sub_f32_e32 v44, v46, v51
	v_fma_f32 v48, v48, 2.0, -v49
	v_fma_f32 v40, v36, 2.0, -v50
	;; [unrolled: 1-line block ×5, first 2 shown]
	v_add_f32_e32 v49, v42, v49
	v_fma_f32 v46, v46, 2.0, -v44
	v_sub_f32_e32 v51, v37, v41
	v_sub_f32_e32 v55, v44, v47
	v_fma_f32 v42, v42, 2.0, -v49
	v_sub_f32_e32 v35, v40, v35
	v_mov_b32_e32 v39, v0
	v_fma_f32 v41, v37, 2.0, -v51
	v_sub_f32_e32 v48, v46, v48
	v_fma_f32 v43, v44, 2.0, -v55
	v_fma_f32 v37, v40, 2.0, -v35
	v_fmac_f32_e32 v39, 0xbf3504f3, v42
	v_mov_b32_e32 v40, v54
	v_fma_f32 v36, v46, 2.0, -v48
	v_fmac_f32_e32 v40, 0xbf3504f3, v43
	v_fmac_f32_e32 v39, 0x3f3504f3, v43
	v_add_f32_e32 v43, v50, v48
	v_mov_b32_e32 v47, v52
	v_mov_b32_e32 v48, v53
	v_sub_f32_e32 v36, v41, v36
	v_fmac_f32_e32 v47, 0x3f3504f3, v49
	v_fmac_f32_e32 v48, 0x3f3504f3, v55
	v_fma_f32 v5, v5, 2.0, -v3
	v_fma_f32 v38, v41, 2.0, -v36
	v_fmac_f32_e32 v40, 0xbf3504f3, v42
	v_fma_f32 v41, v0, 2.0, -v39
	v_sub_f32_e32 v44, v51, v45
	v_fmac_f32_e32 v47, 0x3f3504f3, v55
	v_fmac_f32_e32 v48, 0xbf3504f3, v49
	v_add_u32_e32 v0, 0x800, v2
	v_fma_f32 v17, v17, 2.0, -v15
	v_fma_f32 v26, v26, 2.0, -v24
	;; [unrolled: 1-line block ×8, first 2 shown]
	ds_write_b64 v69, v[5:6]
	ds_write_b64 v69, v[9:10] offset:408
	ds_write_b64 v69, v[13:14] offset:816
	;; [unrolled: 1-line block ×7, first 2 shown]
	ds_write2_b64 v2, v[21:22], v[25:26] offset1:51
	ds_write2_b64 v2, v[29:30], v[33:34] offset0:102 offset1:153
	ds_write2_b64 v2, v[19:20], v[23:24] offset0:204 offset1:255
	;; [unrolled: 1-line block ×3, first 2 shown]
	ds_write_b64 v69, v[37:38] offset:272
	ds_write_b64 v69, v[41:42] offset:680
	;; [unrolled: 1-line block ×8, first 2 shown]
	s_waitcnt lgkmcnt(0)
	; wave barrier
	s_waitcnt lgkmcnt(0)
	ds_read_b64 v[5:6], v77
	v_sub_u32_e32 v0, v76, v67
                                        ; implicit-def: $vgpr2
                                        ; implicit-def: $vgpr7
                                        ; implicit-def: $vgpr3_vgpr4
	s_and_saveexec_b64 s[4:5], s[0:1]
	s_xor_b64 s[4:5], exec, s[4:5]
	s_cbranch_execz .LBB0_16
; %bb.15:
	v_mov_b32_e32 v67, v1
	v_lshlrev_b64 v[1:2], 3, v[66:67]
	v_mov_b32_e32 v3, s13
	v_add_co_u32_e64 v1, s[0:1], s12, v1
	v_addc_co_u32_e64 v2, s[0:1], v3, v2, s[0:1]
	global_load_dwordx2 v[1:2], v[1:2], off offset:3128
	ds_read_b64 v[3:4], v0 offset:3264
	s_waitcnt lgkmcnt(0)
	v_add_f32_e32 v8, v3, v5
	v_sub_f32_e32 v3, v5, v3
	v_add_f32_e32 v7, v4, v6
	v_sub_f32_e32 v4, v6, v4
	v_mul_f32_e32 v3, 0.5, v3
	v_mul_f32_e32 v5, 0.5, v7
	;; [unrolled: 1-line block ×3, first 2 shown]
	s_waitcnt vmcnt(0)
	v_mul_f32_e32 v6, v2, v3
	v_fma_f32 v7, v5, v2, v4
	v_fma_f32 v2, v5, v2, -v4
	v_fma_f32 v4, 0.5, v8, v6
	v_fmac_f32_e32 v4, v1, v5
	v_fma_f32 v7, -v1, v3, v7
	v_fma_f32 v6, v8, 0.5, -v6
	v_fma_f32 v2, -v1, v3, v2
	ds_write_b32 v77, v4
	v_mov_b32_e32 v3, v66
	v_fma_f32 v1, -v1, v5, v6
	v_mov_b32_e32 v4, v67
                                        ; implicit-def: $vgpr5_vgpr6
.LBB0_16:
	s_andn2_saveexec_b64 s[0:1], s[4:5]
	s_cbranch_execz .LBB0_18
; %bb.17:
	ds_read_b32 v2, v76 offset:1636
	s_waitcnt lgkmcnt(1)
	v_add_f32_e32 v7, v5, v6
	v_mov_b32_e32 v3, 0
	ds_write_b32 v77, v7
	v_mov_b32_e32 v7, 0
	s_waitcnt lgkmcnt(1)
	v_xor_b32_e32 v2, 0x80000000, v2
	v_sub_f32_e32 v1, v5, v6
	v_mov_b32_e32 v4, 0
	ds_write_b32 v76, v2 offset:1636
	v_mov_b32_e32 v2, v7
.LBB0_18:
	s_or_b64 exec, exec, s[0:1]
	v_mov_b32_e32 v69, 0
	s_waitcnt lgkmcnt(0)
	v_lshlrev_b64 v[5:6], 3, v[68:69]
	v_mov_b32_e32 v8, s13
	v_add_co_u32_e64 v5, s[0:1], s12, v5
	v_addc_co_u32_e64 v6, s[0:1], v8, v6, s[0:1]
	global_load_dwordx2 v[5:6], v[5:6], off offset:3128
	s_add_u32 s0, s12, 0xc38
	v_lshlrev_b64 v[3:4], 3, v[3:4]
	s_addc_u32 s1, s13, 0
	v_mov_b32_e32 v8, s1
	v_add_co_u32_e64 v3, s[0:1], s0, v3
	v_addc_co_u32_e64 v4, s[0:1], v8, v4, s[0:1]
	global_load_dwordx2 v[8:9], v[3:4], off offset:272
	global_load_dwordx2 v[10:11], v[3:4], off offset:408
	ds_write_b32 v77, v7 offset:4
	ds_write_b64 v0, v[1:2] offset:3264
	v_lshl_add_u32 v7, v68, 3, v76
	ds_read_b64 v[1:2], v7
	ds_read_b64 v[12:13], v0 offset:3128
	global_load_dwordx2 v[14:15], v[3:4], off offset:544
	s_waitcnt lgkmcnt(0)
	v_add_f32_e32 v16, v1, v12
	v_sub_f32_e32 v1, v1, v12
	v_add_f32_e32 v17, v2, v13
	v_sub_f32_e32 v2, v2, v13
	v_mul_f32_e32 v13, 0.5, v1
	v_mul_f32_e32 v12, 0.5, v17
	;; [unrolled: 1-line block ×3, first 2 shown]
	s_waitcnt vmcnt(3)
	v_mul_f32_e32 v17, v6, v13
	v_fma_f32 v2, v12, v6, v1
	v_fma_f32 v6, v12, v6, -v1
	v_fma_f32 v1, 0.5, v16, v17
	v_fma_f32 v2, -v5, v13, v2
	v_fma_f32 v16, v16, 0.5, -v17
	v_fmac_f32_e32 v1, v5, v12
	v_fma_f32 v6, -v5, v13, v6
	v_fma_f32 v5, -v5, v12, v16
	ds_write_b64 v7, v[1:2]
	ds_write_b64 v0, v[5:6] offset:3128
	ds_read_b64 v[1:2], v77 offset:272
	ds_read_b64 v[5:6], v0 offset:2992
	global_load_dwordx2 v[12:13], v[3:4], off offset:680
	s_waitcnt lgkmcnt(0)
	v_add_f32_e32 v7, v1, v5
	v_sub_f32_e32 v1, v1, v5
	v_add_f32_e32 v16, v2, v6
	v_sub_f32_e32 v2, v2, v6
	v_mul_f32_e32 v6, 0.5, v1
	v_mul_f32_e32 v5, 0.5, v16
	v_mul_f32_e32 v1, 0.5, v2
	s_waitcnt vmcnt(3)
	v_mul_f32_e32 v16, v9, v6
	v_fma_f32 v2, v5, v9, v1
	v_fma_f32 v9, v5, v9, -v1
	v_fma_f32 v1, 0.5, v7, v16
	v_fma_f32 v2, -v8, v6, v2
	v_fma_f32 v7, v7, 0.5, -v16
	v_fmac_f32_e32 v1, v8, v5
	v_fma_f32 v6, -v8, v6, v9
	v_fma_f32 v5, -v8, v5, v7
	ds_write_b64 v77, v[1:2] offset:272
	ds_write_b64 v0, v[5:6] offset:2992
	ds_read_b64 v[1:2], v77 offset:408
	ds_read_b64 v[5:6], v0 offset:2856
	global_load_dwordx2 v[7:8], v[3:4], off offset:816
	s_waitcnt lgkmcnt(0)
	v_add_f32_e32 v9, v1, v5
	v_sub_f32_e32 v1, v1, v5
	v_add_f32_e32 v16, v2, v6
	v_sub_f32_e32 v2, v2, v6
	v_mul_f32_e32 v6, 0.5, v1
	v_mul_f32_e32 v5, 0.5, v16
	v_mul_f32_e32 v1, 0.5, v2
	s_waitcnt vmcnt(3)
	v_mul_f32_e32 v16, v11, v6
	v_fma_f32 v2, v5, v11, v1
	v_fma_f32 v11, v5, v11, -v1
	v_fma_f32 v1, 0.5, v9, v16
	v_fma_f32 v2, -v10, v6, v2
	v_fma_f32 v9, v9, 0.5, -v16
	v_fmac_f32_e32 v1, v10, v5
	v_fma_f32 v6, -v10, v6, v11
	v_fma_f32 v5, -v10, v5, v9
	ds_write_b64 v77, v[1:2] offset:408
	;; [unrolled: 23-line block ×4, first 2 shown]
	ds_write_b64 v0, v[5:6] offset:2584
	ds_read_b64 v[1:2], v77 offset:816
	ds_read_b64 v[5:6], v0 offset:2448
	global_load_dwordx2 v[11:12], v[3:4], off offset:1224
	s_waitcnt lgkmcnt(0)
	v_add_f32_e32 v13, v1, v5
	v_sub_f32_e32 v1, v1, v5
	v_add_f32_e32 v16, v2, v6
	v_sub_f32_e32 v2, v2, v6
	v_mul_f32_e32 v6, 0.5, v1
	v_mul_f32_e32 v5, 0.5, v16
	v_mul_f32_e32 v16, 0.5, v2
	s_waitcnt vmcnt(3)
	v_mul_f32_e32 v17, v8, v6
	v_fma_f32 v2, v5, v8, v16
	v_fma_f32 v1, 0.5, v13, v17
	v_fma_f32 v2, -v7, v6, v2
	v_fmac_f32_e32 v1, v7, v5
	v_fma_f32 v13, v13, 0.5, -v17
	ds_write_b64 v77, v[1:2] offset:816
	v_fma_f32 v2, v5, v8, -v16
	v_fma_f32 v1, -v7, v5, v13
	v_fma_f32 v2, -v7, v6, v2
	ds_write_b64 v0, v[1:2] offset:2448
	ds_read_b64 v[1:2], v77 offset:952
	ds_read_b64 v[5:6], v0 offset:2312
	s_waitcnt lgkmcnt(0)
	v_add_f32_e32 v7, v2, v6
	v_mul_f32_e32 v16, 0.5, v7
	global_load_dwordx2 v[7:8], v[3:4], off offset:1360
	v_add_f32_e32 v13, v1, v5
	v_sub_f32_e32 v1, v1, v5
	v_sub_f32_e32 v2, v2, v6
	v_mul_f32_e32 v5, 0.5, v1
	v_mul_f32_e32 v6, 0.5, v2
	s_waitcnt vmcnt(3)
	v_mul_f32_e32 v17, v10, v5
	v_fma_f32 v1, 0.5, v13, v17
	v_fma_f32 v2, v16, v10, v6
	v_fmac_f32_e32 v1, v9, v16
	v_fma_f32 v2, -v9, v5, v2
	ds_write_b64 v77, v[1:2] offset:952
	v_fma_f32 v1, v13, 0.5, -v17
	v_fma_f32 v2, v16, v10, -v6
	v_fma_f32 v1, -v9, v16, v1
	v_fma_f32 v2, -v9, v5, v2
	ds_write_b64 v0, v[1:2] offset:2312
	ds_read_b64 v[1:2], v77 offset:1088
	ds_read_b64 v[5:6], v0 offset:2176
	global_load_dwordx2 v[3:4], v[3:4], off offset:1496
	s_waitcnt lgkmcnt(0)
	v_add_f32_e32 v9, v1, v5
	v_sub_f32_e32 v1, v1, v5
	v_add_f32_e32 v10, v2, v6
	v_sub_f32_e32 v2, v2, v6
	v_mul_f32_e32 v5, 0.5, v1
	v_mul_f32_e32 v10, 0.5, v10
	;; [unrolled: 1-line block ×3, first 2 shown]
	s_waitcnt vmcnt(3)
	v_mul_f32_e32 v13, v15, v5
	v_fma_f32 v1, 0.5, v9, v13
	v_fma_f32 v2, v10, v15, v6
	v_fmac_f32_e32 v1, v14, v10
	v_fma_f32 v2, -v14, v5, v2
	ds_write_b64 v77, v[1:2] offset:1088
	v_fma_f32 v1, v9, 0.5, -v13
	v_fma_f32 v2, v10, v15, -v6
	v_fma_f32 v1, -v14, v10, v1
	v_fma_f32 v2, -v14, v5, v2
	v_xor_b32_e32 v5, 0xff, v66
	ds_write_b64 v0, v[1:2] offset:2176
	v_lshl_add_u32 v9, v5, 3, v76
	ds_read_b64 v[1:2], v77 offset:1224
	ds_read_b64 v[5:6], v9
	s_waitcnt lgkmcnt(0)
	v_add_f32_e32 v10, v1, v5
	v_sub_f32_e32 v1, v1, v5
	v_add_f32_e32 v13, v2, v6
	v_sub_f32_e32 v2, v2, v6
	v_mul_f32_e32 v5, 0.5, v1
	v_mul_f32_e32 v13, 0.5, v13
	;; [unrolled: 1-line block ×3, first 2 shown]
	s_waitcnt vmcnt(2)
	v_mul_f32_e32 v14, v12, v5
	v_fma_f32 v1, 0.5, v10, v14
	v_fma_f32 v2, v13, v12, v6
	v_fmac_f32_e32 v1, v11, v13
	v_fma_f32 v2, -v11, v5, v2
	ds_write_b64 v77, v[1:2] offset:1224
	v_fma_f32 v1, v10, 0.5, -v14
	v_fma_f32 v2, v13, v12, -v6
	v_fma_f32 v1, -v11, v13, v1
	v_fma_f32 v2, -v11, v5, v2
	ds_write_b64 v9, v[1:2]
	ds_read_b64 v[1:2], v77 offset:1360
	ds_read_b64 v[5:6], v0 offset:1904
	s_waitcnt lgkmcnt(0)
	v_add_f32_e32 v9, v1, v5
	v_sub_f32_e32 v1, v1, v5
	v_add_f32_e32 v10, v2, v6
	v_sub_f32_e32 v2, v2, v6
	v_mul_f32_e32 v5, 0.5, v1
	v_mul_f32_e32 v10, 0.5, v10
	;; [unrolled: 1-line block ×3, first 2 shown]
	s_waitcnt vmcnt(1)
	v_mul_f32_e32 v11, v8, v5
	v_fma_f32 v1, 0.5, v9, v11
	v_fma_f32 v2, v10, v8, v6
	v_fmac_f32_e32 v1, v7, v10
	v_fma_f32 v2, -v7, v5, v2
	ds_write_b64 v77, v[1:2] offset:1360
	v_fma_f32 v1, v9, 0.5, -v11
	v_fma_f32 v2, v10, v8, -v6
	v_fma_f32 v1, -v7, v10, v1
	v_fma_f32 v2, -v7, v5, v2
	ds_write_b64 v0, v[1:2] offset:1904
	ds_read_b64 v[1:2], v77 offset:1496
	ds_read_b64 v[5:6], v0 offset:1768
	s_waitcnt lgkmcnt(0)
	v_add_f32_e32 v7, v1, v5
	v_sub_f32_e32 v1, v1, v5
	v_add_f32_e32 v8, v2, v6
	v_sub_f32_e32 v2, v2, v6
	v_mul_f32_e32 v5, 0.5, v1
	v_mul_f32_e32 v8, 0.5, v8
	;; [unrolled: 1-line block ×3, first 2 shown]
	s_waitcnt vmcnt(0)
	v_mul_f32_e32 v9, v4, v5
	v_fma_f32 v1, 0.5, v7, v9
	v_fma_f32 v2, v8, v4, v6
	v_fmac_f32_e32 v1, v3, v8
	v_fma_f32 v2, -v3, v5, v2
	ds_write_b64 v77, v[1:2] offset:1496
	v_fma_f32 v1, v7, 0.5, -v9
	v_fma_f32 v2, v8, v4, -v6
	v_fma_f32 v1, -v3, v8, v1
	v_fma_f32 v2, -v3, v5, v2
	ds_write_b64 v0, v[1:2] offset:1768
	s_waitcnt lgkmcnt(0)
	; wave barrier
	s_waitcnt lgkmcnt(0)
	s_and_saveexec_b64 s[0:1], vcc
	s_cbranch_execz .LBB0_21
; %bb.19:
	v_mul_lo_u32 v2, s3, v70
	v_mul_lo_u32 v3, s2, v71
	v_mad_u64_u32 v[0:1], s[0:1], s2, v70, 0
	v_mov_b32_e32 v7, s11
	v_mov_b32_e32 v67, v69
	v_add3_u32 v1, v1, v3, v2
	v_lshlrev_b64 v[0:1], 3, v[0:1]
	v_lshl_add_u32 v2, v66, 3, v76
	v_add_co_u32_e32 v8, vcc, s10, v0
	v_addc_co_u32_e32 v7, vcc, v7, v1, vcc
	v_lshlrev_b64 v[0:1], 3, v[64:65]
	ds_read2_b64 v[3:6], v2 offset1:17
	v_add_co_u32_e32 v0, vcc, v8, v0
	v_addc_co_u32_e32 v1, vcc, v7, v1, vcc
	v_lshlrev_b64 v[7:8], 3, v[66:67]
	v_add_u32_e32 v68, 17, v66
	v_add_co_u32_e32 v7, vcc, v0, v7
	v_addc_co_u32_e32 v8, vcc, v1, v8, vcc
	s_waitcnt lgkmcnt(0)
	global_store_dwordx2 v[7:8], v[3:4], off
	v_lshlrev_b64 v[3:4], 3, v[68:69]
	v_add_u32_e32 v68, 34, v66
	v_add_co_u32_e32 v3, vcc, v0, v3
	v_addc_co_u32_e32 v4, vcc, v1, v4, vcc
	global_store_dwordx2 v[3:4], v[5:6], off
	ds_read2_b64 v[3:6], v2 offset0:34 offset1:51
	v_lshlrev_b64 v[7:8], 3, v[68:69]
	v_add_u32_e32 v68, 51, v66
	v_add_co_u32_e32 v7, vcc, v0, v7
	v_addc_co_u32_e32 v8, vcc, v1, v8, vcc
	s_waitcnt lgkmcnt(0)
	global_store_dwordx2 v[7:8], v[3:4], off
	v_lshlrev_b64 v[3:4], 3, v[68:69]
	v_add_u32_e32 v68, 0x44, v66
	v_add_co_u32_e32 v3, vcc, v0, v3
	v_addc_co_u32_e32 v4, vcc, v1, v4, vcc
	global_store_dwordx2 v[3:4], v[5:6], off
	ds_read2_b64 v[3:6], v2 offset0:68 offset1:85
	;; [unrolled: 12-line block ×7, first 2 shown]
	v_lshlrev_b64 v[7:8], 3, v[68:69]
	v_add_u32_e32 v68, 0xff, v66
	v_add_co_u32_e32 v7, vcc, v0, v7
	v_addc_co_u32_e32 v8, vcc, v1, v8, vcc
	s_waitcnt lgkmcnt(0)
	global_store_dwordx2 v[7:8], v[3:4], off
	v_lshlrev_b64 v[3:4], 3, v[68:69]
	v_add_u32_e32 v9, 0x800, v2
	v_add_co_u32_e32 v3, vcc, v0, v3
	v_addc_co_u32_e32 v4, vcc, v1, v4, vcc
	global_store_dwordx2 v[3:4], v[5:6], off
	v_add_u32_e32 v68, 0x110, v66
	ds_read2_b64 v[3:6], v9 offset0:16 offset1:33
	v_lshlrev_b64 v[7:8], 3, v[68:69]
	v_add_u32_e32 v68, 0x121, v66
	v_add_co_u32_e32 v7, vcc, v0, v7
	v_addc_co_u32_e32 v8, vcc, v1, v8, vcc
	s_waitcnt lgkmcnt(0)
	global_store_dwordx2 v[7:8], v[3:4], off
	v_lshlrev_b64 v[3:4], 3, v[68:69]
	v_add_u32_e32 v68, 0x132, v66
	v_add_co_u32_e32 v3, vcc, v0, v3
	v_addc_co_u32_e32 v4, vcc, v1, v4, vcc
	global_store_dwordx2 v[3:4], v[5:6], off
	ds_read2_b64 v[3:6], v9 offset0:50 offset1:67
	v_lshlrev_b64 v[7:8], 3, v[68:69]
	v_add_u32_e32 v68, 0x143, v66
	v_add_co_u32_e32 v7, vcc, v0, v7
	v_addc_co_u32_e32 v8, vcc, v1, v8, vcc
	s_waitcnt lgkmcnt(0)
	global_store_dwordx2 v[7:8], v[3:4], off
	v_lshlrev_b64 v[3:4], 3, v[68:69]
	v_add_u32_e32 v68, 0x154, v66
	v_add_co_u32_e32 v3, vcc, v0, v3
	v_addc_co_u32_e32 v4, vcc, v1, v4, vcc
	global_store_dwordx2 v[3:4], v[5:6], off
	;; [unrolled: 12-line block ×3, first 2 shown]
	ds_read2_b64 v[3:6], v9 offset0:118 offset1:135
	v_lshlrev_b64 v[7:8], 3, v[68:69]
	v_add_u32_e32 v68, 0x187, v66
	v_add_co_u32_e32 v7, vcc, v0, v7
	v_addc_co_u32_e32 v8, vcc, v1, v8, vcc
	s_waitcnt lgkmcnt(0)
	global_store_dwordx2 v[7:8], v[3:4], off
	v_lshlrev_b64 v[3:4], 3, v[68:69]
	v_add_co_u32_e32 v3, vcc, v0, v3
	v_addc_co_u32_e32 v4, vcc, v1, v4, vcc
	v_cmp_eq_u32_e32 vcc, 16, v66
	global_store_dwordx2 v[3:4], v[5:6], off
	s_and_b64 exec, exec, vcc
	s_cbranch_execz .LBB0_21
; %bb.20:
	ds_read_b64 v[2:3], v2 offset:3136
	s_waitcnt lgkmcnt(0)
	global_store_dwordx2 v[0:1], v[2:3], off offset:3264
.LBB0_21:
	s_endpgm
	.section	.rodata,"a",@progbits
	.p2align	6, 0x0
	.amdhsa_kernel fft_rtc_back_len408_factors_17_3_8_wgs_51_tpt_17_halfLds_sp_op_CI_CI_unitstride_sbrr_R2C_dirReg
		.amdhsa_group_segment_fixed_size 0
		.amdhsa_private_segment_fixed_size 0
		.amdhsa_kernarg_size 104
		.amdhsa_user_sgpr_count 6
		.amdhsa_user_sgpr_private_segment_buffer 1
		.amdhsa_user_sgpr_dispatch_ptr 0
		.amdhsa_user_sgpr_queue_ptr 0
		.amdhsa_user_sgpr_kernarg_segment_ptr 1
		.amdhsa_user_sgpr_dispatch_id 0
		.amdhsa_user_sgpr_flat_scratch_init 0
		.amdhsa_user_sgpr_private_segment_size 0
		.amdhsa_uses_dynamic_stack 0
		.amdhsa_system_sgpr_private_segment_wavefront_offset 0
		.amdhsa_system_sgpr_workgroup_id_x 1
		.amdhsa_system_sgpr_workgroup_id_y 0
		.amdhsa_system_sgpr_workgroup_id_z 0
		.amdhsa_system_sgpr_workgroup_info 0
		.amdhsa_system_vgpr_workitem_id 0
		.amdhsa_next_free_vgpr 177
		.amdhsa_next_free_sgpr 28
		.amdhsa_reserve_vcc 1
		.amdhsa_reserve_flat_scratch 0
		.amdhsa_float_round_mode_32 0
		.amdhsa_float_round_mode_16_64 0
		.amdhsa_float_denorm_mode_32 3
		.amdhsa_float_denorm_mode_16_64 3
		.amdhsa_dx10_clamp 1
		.amdhsa_ieee_mode 1
		.amdhsa_fp16_overflow 0
		.amdhsa_exception_fp_ieee_invalid_op 0
		.amdhsa_exception_fp_denorm_src 0
		.amdhsa_exception_fp_ieee_div_zero 0
		.amdhsa_exception_fp_ieee_overflow 0
		.amdhsa_exception_fp_ieee_underflow 0
		.amdhsa_exception_fp_ieee_inexact 0
		.amdhsa_exception_int_div_zero 0
	.end_amdhsa_kernel
	.text
.Lfunc_end0:
	.size	fft_rtc_back_len408_factors_17_3_8_wgs_51_tpt_17_halfLds_sp_op_CI_CI_unitstride_sbrr_R2C_dirReg, .Lfunc_end0-fft_rtc_back_len408_factors_17_3_8_wgs_51_tpt_17_halfLds_sp_op_CI_CI_unitstride_sbrr_R2C_dirReg
                                        ; -- End function
	.section	.AMDGPU.csdata,"",@progbits
; Kernel info:
; codeLenInByte = 18548
; NumSgprs: 32
; NumVgprs: 177
; ScratchSize: 0
; MemoryBound: 0
; FloatMode: 240
; IeeeMode: 1
; LDSByteSize: 0 bytes/workgroup (compile time only)
; SGPRBlocks: 3
; VGPRBlocks: 44
; NumSGPRsForWavesPerEU: 32
; NumVGPRsForWavesPerEU: 177
; Occupancy: 1
; WaveLimiterHint : 1
; COMPUTE_PGM_RSRC2:SCRATCH_EN: 0
; COMPUTE_PGM_RSRC2:USER_SGPR: 6
; COMPUTE_PGM_RSRC2:TRAP_HANDLER: 0
; COMPUTE_PGM_RSRC2:TGID_X_EN: 1
; COMPUTE_PGM_RSRC2:TGID_Y_EN: 0
; COMPUTE_PGM_RSRC2:TGID_Z_EN: 0
; COMPUTE_PGM_RSRC2:TIDIG_COMP_CNT: 0
	.type	__hip_cuid_e75684f5f8d97537,@object ; @__hip_cuid_e75684f5f8d97537
	.section	.bss,"aw",@nobits
	.globl	__hip_cuid_e75684f5f8d97537
__hip_cuid_e75684f5f8d97537:
	.byte	0                               ; 0x0
	.size	__hip_cuid_e75684f5f8d97537, 1

	.ident	"AMD clang version 19.0.0git (https://github.com/RadeonOpenCompute/llvm-project roc-6.4.0 25133 c7fe45cf4b819c5991fe208aaa96edf142730f1d)"
	.section	".note.GNU-stack","",@progbits
	.addrsig
	.addrsig_sym __hip_cuid_e75684f5f8d97537
	.amdgpu_metadata
---
amdhsa.kernels:
  - .args:
      - .actual_access:  read_only
        .address_space:  global
        .offset:         0
        .size:           8
        .value_kind:     global_buffer
      - .offset:         8
        .size:           8
        .value_kind:     by_value
      - .actual_access:  read_only
        .address_space:  global
        .offset:         16
        .size:           8
        .value_kind:     global_buffer
      - .actual_access:  read_only
        .address_space:  global
        .offset:         24
        .size:           8
        .value_kind:     global_buffer
      - .actual_access:  read_only
        .address_space:  global
        .offset:         32
        .size:           8
        .value_kind:     global_buffer
      - .offset:         40
        .size:           8
        .value_kind:     by_value
      - .actual_access:  read_only
        .address_space:  global
        .offset:         48
        .size:           8
        .value_kind:     global_buffer
      - .actual_access:  read_only
        .address_space:  global
        .offset:         56
        .size:           8
        .value_kind:     global_buffer
      - .offset:         64
        .size:           4
        .value_kind:     by_value
      - .actual_access:  read_only
        .address_space:  global
        .offset:         72
        .size:           8
        .value_kind:     global_buffer
      - .actual_access:  read_only
        .address_space:  global
        .offset:         80
        .size:           8
        .value_kind:     global_buffer
      - .actual_access:  read_only
        .address_space:  global
        .offset:         88
        .size:           8
        .value_kind:     global_buffer
      - .actual_access:  write_only
        .address_space:  global
        .offset:         96
        .size:           8
        .value_kind:     global_buffer
    .group_segment_fixed_size: 0
    .kernarg_segment_align: 8
    .kernarg_segment_size: 104
    .language:       OpenCL C
    .language_version:
      - 2
      - 0
    .max_flat_workgroup_size: 51
    .name:           fft_rtc_back_len408_factors_17_3_8_wgs_51_tpt_17_halfLds_sp_op_CI_CI_unitstride_sbrr_R2C_dirReg
    .private_segment_fixed_size: 0
    .sgpr_count:     32
    .sgpr_spill_count: 0
    .symbol:         fft_rtc_back_len408_factors_17_3_8_wgs_51_tpt_17_halfLds_sp_op_CI_CI_unitstride_sbrr_R2C_dirReg.kd
    .uniform_work_group_size: 1
    .uses_dynamic_stack: false
    .vgpr_count:     177
    .vgpr_spill_count: 0
    .wavefront_size: 64
amdhsa.target:   amdgcn-amd-amdhsa--gfx906
amdhsa.version:
  - 1
  - 2
...

	.end_amdgpu_metadata
